;; amdgpu-corpus repo=ROCm/rocFFT kind=compiled arch=gfx1100 opt=O3
	.text
	.amdgcn_target "amdgcn-amd-amdhsa--gfx1100"
	.amdhsa_code_object_version 6
	.protected	fft_rtc_fwd_len578_factors_17_17_2_wgs_238_tpt_34_halfLds_sp_ip_CI_unitstride_sbrr_R2C_dirReg ; -- Begin function fft_rtc_fwd_len578_factors_17_17_2_wgs_238_tpt_34_halfLds_sp_ip_CI_unitstride_sbrr_R2C_dirReg
	.globl	fft_rtc_fwd_len578_factors_17_17_2_wgs_238_tpt_34_halfLds_sp_ip_CI_unitstride_sbrr_R2C_dirReg
	.p2align	8
	.type	fft_rtc_fwd_len578_factors_17_17_2_wgs_238_tpt_34_halfLds_sp_ip_CI_unitstride_sbrr_R2C_dirReg,@function
fft_rtc_fwd_len578_factors_17_17_2_wgs_238_tpt_34_halfLds_sp_ip_CI_unitstride_sbrr_R2C_dirReg: ; @fft_rtc_fwd_len578_factors_17_17_2_wgs_238_tpt_34_halfLds_sp_ip_CI_unitstride_sbrr_R2C_dirReg
; %bb.0:
	s_load_b128 s[4:7], s[0:1], 0x0
	v_mul_u32_u24_e32 v1, 0x788, v0
	s_clause 0x1
	s_load_b64 s[8:9], s[0:1], 0x50
	s_load_b64 s[10:11], s[0:1], 0x18
	v_mov_b32_e32 v5, 0
	v_lshrrev_b32_e32 v3, 16, v1
	s_delay_alu instid0(VALU_DEP_1) | instskip(SKIP_3) | instid1(VALU_DEP_1)
	v_mad_u64_u32 v[1:2], null, s15, 7, v[3:4]
	v_mov_b32_e32 v3, 0
	v_mov_b32_e32 v4, 0
	;; [unrolled: 1-line block ×4, first 2 shown]
	s_waitcnt lgkmcnt(0)
	v_cmp_lt_u64_e64 s2, s[6:7], 2
	v_mov_b32_e32 v9, v1
	s_delay_alu instid0(VALU_DEP_2)
	s_and_b32 vcc_lo, exec_lo, s2
	s_cbranch_vccnz .LBB0_8
; %bb.1:
	s_load_b64 s[2:3], s[0:1], 0x10
	v_dual_mov_b32 v3, 0 :: v_dual_mov_b32 v8, v2
	s_add_u32 s12, s10, 8
	v_dual_mov_b32 v4, 0 :: v_dual_mov_b32 v7, v1
	s_addc_u32 s13, s11, 0
	s_mov_b64 s[16:17], 1
	s_waitcnt lgkmcnt(0)
	s_add_u32 s14, s2, 8
	s_addc_u32 s15, s3, 0
.LBB0_2:                                ; =>This Inner Loop Header: Depth=1
	s_load_b64 s[18:19], s[14:15], 0x0
                                        ; implicit-def: $vgpr9_vgpr10
	s_mov_b32 s2, exec_lo
	s_waitcnt lgkmcnt(0)
	v_or_b32_e32 v6, s19, v8
	s_delay_alu instid0(VALU_DEP_1)
	v_cmpx_ne_u64_e32 0, v[5:6]
	s_xor_b32 s3, exec_lo, s2
	s_cbranch_execz .LBB0_4
; %bb.3:                                ;   in Loop: Header=BB0_2 Depth=1
	v_cvt_f32_u32_e32 v2, s18
	v_cvt_f32_u32_e32 v6, s19
	s_sub_u32 s2, 0, s18
	s_subb_u32 s20, 0, s19
	s_delay_alu instid0(VALU_DEP_1) | instskip(NEXT) | instid1(VALU_DEP_1)
	v_fmac_f32_e32 v2, 0x4f800000, v6
	v_rcp_f32_e32 v2, v2
	s_waitcnt_depctr 0xfff
	v_mul_f32_e32 v2, 0x5f7ffffc, v2
	s_delay_alu instid0(VALU_DEP_1) | instskip(NEXT) | instid1(VALU_DEP_1)
	v_mul_f32_e32 v6, 0x2f800000, v2
	v_trunc_f32_e32 v6, v6
	s_delay_alu instid0(VALU_DEP_1) | instskip(SKIP_1) | instid1(VALU_DEP_2)
	v_fmac_f32_e32 v2, 0xcf800000, v6
	v_cvt_u32_f32_e32 v6, v6
	v_cvt_u32_f32_e32 v2, v2
	s_delay_alu instid0(VALU_DEP_2) | instskip(NEXT) | instid1(VALU_DEP_2)
	v_mul_lo_u32 v9, s2, v6
	v_mul_hi_u32 v10, s2, v2
	v_mul_lo_u32 v11, s20, v2
	s_delay_alu instid0(VALU_DEP_2) | instskip(SKIP_1) | instid1(VALU_DEP_2)
	v_add_nc_u32_e32 v9, v10, v9
	v_mul_lo_u32 v10, s2, v2
	v_add_nc_u32_e32 v9, v9, v11
	s_delay_alu instid0(VALU_DEP_2) | instskip(NEXT) | instid1(VALU_DEP_2)
	v_mul_hi_u32 v11, v2, v10
	v_mul_lo_u32 v12, v2, v9
	v_mul_hi_u32 v13, v2, v9
	v_mul_hi_u32 v14, v6, v10
	v_mul_lo_u32 v10, v6, v10
	v_mul_hi_u32 v15, v6, v9
	v_mul_lo_u32 v9, v6, v9
	v_add_co_u32 v11, vcc_lo, v11, v12
	v_add_co_ci_u32_e32 v12, vcc_lo, 0, v13, vcc_lo
	s_delay_alu instid0(VALU_DEP_2) | instskip(NEXT) | instid1(VALU_DEP_2)
	v_add_co_u32 v10, vcc_lo, v11, v10
	v_add_co_ci_u32_e32 v10, vcc_lo, v12, v14, vcc_lo
	v_add_co_ci_u32_e32 v11, vcc_lo, 0, v15, vcc_lo
	s_delay_alu instid0(VALU_DEP_2) | instskip(NEXT) | instid1(VALU_DEP_2)
	v_add_co_u32 v9, vcc_lo, v10, v9
	v_add_co_ci_u32_e32 v10, vcc_lo, 0, v11, vcc_lo
	s_delay_alu instid0(VALU_DEP_2) | instskip(NEXT) | instid1(VALU_DEP_2)
	v_add_co_u32 v2, vcc_lo, v2, v9
	v_add_co_ci_u32_e32 v6, vcc_lo, v6, v10, vcc_lo
	s_delay_alu instid0(VALU_DEP_2) | instskip(SKIP_1) | instid1(VALU_DEP_3)
	v_mul_hi_u32 v9, s2, v2
	v_mul_lo_u32 v11, s20, v2
	v_mul_lo_u32 v10, s2, v6
	s_delay_alu instid0(VALU_DEP_1) | instskip(SKIP_1) | instid1(VALU_DEP_2)
	v_add_nc_u32_e32 v9, v9, v10
	v_mul_lo_u32 v10, s2, v2
	v_add_nc_u32_e32 v9, v9, v11
	s_delay_alu instid0(VALU_DEP_2) | instskip(NEXT) | instid1(VALU_DEP_2)
	v_mul_hi_u32 v11, v2, v10
	v_mul_lo_u32 v12, v2, v9
	v_mul_hi_u32 v13, v2, v9
	v_mul_hi_u32 v14, v6, v10
	v_mul_lo_u32 v10, v6, v10
	v_mul_hi_u32 v15, v6, v9
	v_mul_lo_u32 v9, v6, v9
	v_add_co_u32 v11, vcc_lo, v11, v12
	v_add_co_ci_u32_e32 v12, vcc_lo, 0, v13, vcc_lo
	s_delay_alu instid0(VALU_DEP_2) | instskip(NEXT) | instid1(VALU_DEP_2)
	v_add_co_u32 v10, vcc_lo, v11, v10
	v_add_co_ci_u32_e32 v10, vcc_lo, v12, v14, vcc_lo
	v_add_co_ci_u32_e32 v11, vcc_lo, 0, v15, vcc_lo
	s_delay_alu instid0(VALU_DEP_2) | instskip(NEXT) | instid1(VALU_DEP_2)
	v_add_co_u32 v9, vcc_lo, v10, v9
	v_add_co_ci_u32_e32 v10, vcc_lo, 0, v11, vcc_lo
	s_delay_alu instid0(VALU_DEP_2) | instskip(NEXT) | instid1(VALU_DEP_2)
	v_add_co_u32 v2, vcc_lo, v2, v9
	v_add_co_ci_u32_e32 v6, vcc_lo, v6, v10, vcc_lo
	s_delay_alu instid0(VALU_DEP_2) | instskip(SKIP_1) | instid1(VALU_DEP_3)
	v_mul_hi_u32 v15, v7, v2
	v_mad_u64_u32 v[11:12], null, v8, v2, 0
	v_mad_u64_u32 v[9:10], null, v7, v6, 0
	;; [unrolled: 1-line block ×3, first 2 shown]
	s_delay_alu instid0(VALU_DEP_2) | instskip(NEXT) | instid1(VALU_DEP_3)
	v_add_co_u32 v2, vcc_lo, v15, v9
	v_add_co_ci_u32_e32 v6, vcc_lo, 0, v10, vcc_lo
	s_delay_alu instid0(VALU_DEP_2) | instskip(NEXT) | instid1(VALU_DEP_2)
	v_add_co_u32 v2, vcc_lo, v2, v11
	v_add_co_ci_u32_e32 v2, vcc_lo, v6, v12, vcc_lo
	v_add_co_ci_u32_e32 v6, vcc_lo, 0, v14, vcc_lo
	s_delay_alu instid0(VALU_DEP_2) | instskip(NEXT) | instid1(VALU_DEP_2)
	v_add_co_u32 v2, vcc_lo, v2, v13
	v_add_co_ci_u32_e32 v6, vcc_lo, 0, v6, vcc_lo
	s_delay_alu instid0(VALU_DEP_2) | instskip(SKIP_1) | instid1(VALU_DEP_3)
	v_mul_lo_u32 v11, s19, v2
	v_mad_u64_u32 v[9:10], null, s18, v2, 0
	v_mul_lo_u32 v12, s18, v6
	s_delay_alu instid0(VALU_DEP_2) | instskip(NEXT) | instid1(VALU_DEP_2)
	v_sub_co_u32 v9, vcc_lo, v7, v9
	v_add3_u32 v10, v10, v12, v11
	s_delay_alu instid0(VALU_DEP_1) | instskip(NEXT) | instid1(VALU_DEP_1)
	v_sub_nc_u32_e32 v11, v8, v10
	v_subrev_co_ci_u32_e64 v11, s2, s19, v11, vcc_lo
	v_add_co_u32 v12, s2, v2, 2
	s_delay_alu instid0(VALU_DEP_1) | instskip(SKIP_3) | instid1(VALU_DEP_3)
	v_add_co_ci_u32_e64 v13, s2, 0, v6, s2
	v_sub_co_u32 v14, s2, v9, s18
	v_sub_co_ci_u32_e32 v10, vcc_lo, v8, v10, vcc_lo
	v_subrev_co_ci_u32_e64 v11, s2, 0, v11, s2
	v_cmp_le_u32_e32 vcc_lo, s18, v14
	s_delay_alu instid0(VALU_DEP_3) | instskip(SKIP_1) | instid1(VALU_DEP_4)
	v_cmp_eq_u32_e64 s2, s19, v10
	v_cndmask_b32_e64 v14, 0, -1, vcc_lo
	v_cmp_le_u32_e32 vcc_lo, s19, v11
	v_cndmask_b32_e64 v15, 0, -1, vcc_lo
	v_cmp_le_u32_e32 vcc_lo, s18, v9
	;; [unrolled: 2-line block ×3, first 2 shown]
	v_cndmask_b32_e64 v16, 0, -1, vcc_lo
	v_cmp_eq_u32_e32 vcc_lo, s19, v11
	s_delay_alu instid0(VALU_DEP_2) | instskip(SKIP_3) | instid1(VALU_DEP_3)
	v_cndmask_b32_e64 v9, v16, v9, s2
	v_cndmask_b32_e32 v11, v15, v14, vcc_lo
	v_add_co_u32 v14, vcc_lo, v2, 1
	v_add_co_ci_u32_e32 v15, vcc_lo, 0, v6, vcc_lo
	v_cmp_ne_u32_e32 vcc_lo, 0, v11
	s_delay_alu instid0(VALU_DEP_2) | instskip(SKIP_1) | instid1(VALU_DEP_2)
	v_dual_cndmask_b32 v10, v15, v13 :: v_dual_cndmask_b32 v11, v14, v12
	v_cmp_ne_u32_e32 vcc_lo, 0, v9
	v_cndmask_b32_e32 v10, v6, v10, vcc_lo
	s_delay_alu instid0(VALU_DEP_3)
	v_cndmask_b32_e32 v9, v2, v11, vcc_lo
.LBB0_4:                                ;   in Loop: Header=BB0_2 Depth=1
	s_and_not1_saveexec_b32 s2, s3
	s_cbranch_execz .LBB0_6
; %bb.5:                                ;   in Loop: Header=BB0_2 Depth=1
	v_cvt_f32_u32_e32 v2, s18
	s_sub_i32 s3, 0, s18
	s_delay_alu instid0(VALU_DEP_1) | instskip(SKIP_2) | instid1(VALU_DEP_1)
	v_rcp_iflag_f32_e32 v2, v2
	s_waitcnt_depctr 0xfff
	v_mul_f32_e32 v2, 0x4f7ffffe, v2
	v_cvt_u32_f32_e32 v2, v2
	s_delay_alu instid0(VALU_DEP_1) | instskip(NEXT) | instid1(VALU_DEP_1)
	v_mul_lo_u32 v6, s3, v2
	v_mul_hi_u32 v6, v2, v6
	s_delay_alu instid0(VALU_DEP_1) | instskip(NEXT) | instid1(VALU_DEP_1)
	v_add_nc_u32_e32 v2, v2, v6
	v_mul_hi_u32 v2, v7, v2
	s_delay_alu instid0(VALU_DEP_1) | instskip(SKIP_1) | instid1(VALU_DEP_2)
	v_mul_lo_u32 v6, v2, s18
	v_add_nc_u32_e32 v9, 1, v2
	v_sub_nc_u32_e32 v6, v7, v6
	s_delay_alu instid0(VALU_DEP_1) | instskip(SKIP_1) | instid1(VALU_DEP_2)
	v_subrev_nc_u32_e32 v10, s18, v6
	v_cmp_le_u32_e32 vcc_lo, s18, v6
	v_cndmask_b32_e32 v6, v6, v10, vcc_lo
	v_mov_b32_e32 v10, v5
	v_cndmask_b32_e32 v2, v2, v9, vcc_lo
	s_delay_alu instid0(VALU_DEP_3) | instskip(NEXT) | instid1(VALU_DEP_2)
	v_cmp_le_u32_e32 vcc_lo, s18, v6
	v_add_nc_u32_e32 v9, 1, v2
	s_delay_alu instid0(VALU_DEP_1)
	v_cndmask_b32_e32 v9, v2, v9, vcc_lo
.LBB0_6:                                ;   in Loop: Header=BB0_2 Depth=1
	s_or_b32 exec_lo, exec_lo, s2
	s_load_b64 s[2:3], s[12:13], 0x0
	v_mul_lo_u32 v2, v10, s18
	s_delay_alu instid0(VALU_DEP_2)
	v_mul_lo_u32 v6, v9, s19
	v_mad_u64_u32 v[11:12], null, v9, s18, 0
	s_add_u32 s16, s16, 1
	s_addc_u32 s17, s17, 0
	s_add_u32 s12, s12, 8
	s_addc_u32 s13, s13, 0
	;; [unrolled: 2-line block ×3, first 2 shown]
	s_delay_alu instid0(VALU_DEP_1) | instskip(SKIP_1) | instid1(VALU_DEP_2)
	v_add3_u32 v2, v12, v6, v2
	v_sub_co_u32 v11, vcc_lo, v7, v11
	v_sub_co_ci_u32_e32 v2, vcc_lo, v8, v2, vcc_lo
	s_waitcnt lgkmcnt(0)
	s_delay_alu instid0(VALU_DEP_2) | instskip(NEXT) | instid1(VALU_DEP_2)
	v_mul_lo_u32 v8, s3, v11
	v_mul_lo_u32 v2, s2, v2
	v_mad_u64_u32 v[6:7], null, s2, v11, v[3:4]
	v_cmp_ge_u64_e64 s2, s[16:17], s[6:7]
	s_delay_alu instid0(VALU_DEP_1) | instskip(NEXT) | instid1(VALU_DEP_2)
	s_and_b32 vcc_lo, exec_lo, s2
	v_add3_u32 v4, v8, v7, v2
	s_delay_alu instid0(VALU_DEP_3)
	v_mov_b32_e32 v3, v6
	s_cbranch_vccnz .LBB0_8
; %bb.7:                                ;   in Loop: Header=BB0_2 Depth=1
	v_dual_mov_b32 v7, v9 :: v_dual_mov_b32 v8, v10
	s_branch .LBB0_2
.LBB0_8:
	v_mul_hi_u32 v2, 0x24924925, v1
	s_lshl_b64 s[2:3], s[6:7], 3
	v_mul_hi_u32 v5, 0x7878788, v0
	s_add_u32 s2, s10, s2
	s_addc_u32 s3, s11, s3
	s_load_b64 s[0:1], s[0:1], 0x20
	s_load_b64 s[2:3], s[2:3], 0x0
	s_delay_alu instid0(VALU_DEP_2) | instskip(NEXT) | instid1(VALU_DEP_2)
	v_sub_nc_u32_e32 v6, v1, v2
	v_mul_u32_u24_e32 v5, 34, v5
	s_delay_alu instid0(VALU_DEP_2) | instskip(NEXT) | instid1(VALU_DEP_2)
	v_lshrrev_b32_e32 v6, 1, v6
	v_sub_nc_u32_e32 v24, v0, v5
	s_delay_alu instid0(VALU_DEP_2) | instskip(NEXT) | instid1(VALU_DEP_2)
	v_add_nc_u32_e32 v0, v6, v2
	v_add_nc_u32_e32 v35, 34, v24
	v_add_nc_u32_e32 v37, 0x44, v24
	v_add_nc_u32_e32 v33, 0x66, v24
	s_delay_alu instid0(VALU_DEP_4)
	v_lshrrev_b32_e32 v0, 2, v0
	v_add_nc_u32_e32 v32, 0x88, v24
	s_waitcnt lgkmcnt(0)
	v_cmp_gt_u64_e32 vcc_lo, s[0:1], v[9:10]
	v_mul_lo_u32 v2, s2, v10
	v_mul_lo_u32 v7, s3, v9
	v_mad_u64_u32 v[5:6], null, s2, v9, v[3:4]
	v_mul_lo_u32 v0, v0, 7
	v_cmp_le_u64_e64 s0, s[0:1], v[9:10]
	v_add_nc_u32_e32 v31, 0xaa, v24
	v_add_nc_u32_e32 v30, 0xcc, v24
	;; [unrolled: 1-line block ×4, first 2 shown]
	v_add3_u32 v6, v7, v6, v2
	v_sub_nc_u32_e32 v0, v1, v0
	s_and_saveexec_b32 s1, s0
	s_delay_alu instid0(SALU_CYCLE_1)
	s_xor_b32 s0, exec_lo, s1
; %bb.9:
	v_add_nc_u32_e32 v35, 34, v24
	v_add_nc_u32_e32 v37, 0x44, v24
	;; [unrolled: 1-line block ×8, first 2 shown]
; %bb.10:
	s_or_saveexec_b32 s1, s0
	v_mul_u32_u24_e32 v0, 0x243, v0
	v_lshlrev_b64 v[26:27], 3, v[5:6]
	v_lshlrev_b32_e32 v62, 3, v24
	s_delay_alu instid0(VALU_DEP_3)
	v_lshlrev_b32_e32 v34, 3, v0
	s_xor_b32 exec_lo, exec_lo, s1
	s_cbranch_execz .LBB0_12
; %bb.11:
	v_mov_b32_e32 v25, 0
	v_add_co_u32 v2, s0, s8, v26
	s_delay_alu instid0(VALU_DEP_1) | instskip(NEXT) | instid1(VALU_DEP_3)
	v_add_co_ci_u32_e64 v3, s0, s9, v27, s0
	v_lshlrev_b64 v[0:1], 3, v[24:25]
	v_add3_u32 v25, 0, v34, v62
	s_delay_alu instid0(VALU_DEP_1) | instskip(NEXT) | instid1(VALU_DEP_3)
	v_add_nc_u32_e32 v36, 0x800, v25
	v_add_co_u32 v0, s0, v2, v0
	s_delay_alu instid0(VALU_DEP_1)
	v_add_co_ci_u32_e64 v1, s0, v3, v1, s0
	s_clause 0xb
	global_load_b64 v[2:3], v[0:1], off
	global_load_b64 v[4:5], v[0:1], off offset:272
	global_load_b64 v[6:7], v[0:1], off offset:544
	;; [unrolled: 1-line block ×11, first 2 shown]
	v_add_co_u32 v40, s0, 0x1000, v0
	s_delay_alu instid0(VALU_DEP_1)
	v_add_co_ci_u32_e64 v41, s0, 0, v1, s0
	s_clause 0x4
	global_load_b64 v[42:43], v[0:1], off offset:3264
	global_load_b64 v[44:45], v[0:1], off offset:3536
	;; [unrolled: 1-line block ×5, first 2 shown]
	s_waitcnt vmcnt(15)
	ds_store_2addr_b64 v25, v[2:3], v[4:5] offset1:34
	s_waitcnt vmcnt(13)
	ds_store_2addr_b64 v25, v[6:7], v[8:9] offset0:68 offset1:102
	s_waitcnt vmcnt(11)
	ds_store_2addr_b64 v25, v[10:11], v[12:13] offset0:136 offset1:170
	;; [unrolled: 2-line block ×7, first 2 shown]
	s_waitcnt vmcnt(0)
	ds_store_b64 v25, v[40:41] offset:4352
.LBB0_12:
	s_or_b32 exec_lo, exec_lo, s1
	s_delay_alu instid0(VALU_DEP_1)
	v_add_nc_u32_e32 v63, 0, v34
	v_add3_u32 v64, 0, v62, v34
	s_waitcnt lgkmcnt(0)
	s_barrier
	buffer_gl0_inv
	v_add_nc_u32_e32 v61, v63, v62
	v_add_nc_u32_e32 v25, 0xc00, v64
	v_cmp_gt_u32_e64 s0, 17, v24
	ds_load_2addr_b64 v[38:41], v64 offset0:34 offset1:68
	ds_load_b64 v[46:47], v61
	ds_load_2addr_b64 v[42:45], v25 offset0:126 offset1:160
	v_add_nc_u32_e32 v0, 0x400, v64
	s_waitcnt lgkmcnt(1)
	v_dual_add_f32 v49, v47, v39 :: v_dual_add_nc_u32 v36, 0x800, v64
	s_waitcnt lgkmcnt(0)
	v_sub_f32_e32 v51, v39, v45
	ds_load_2addr_b64 v[16:19], v64 offset0:102 offset1:136
	ds_load_2addr_b64 v[8:11], v64 offset0:170 offset1:204
	ds_load_2addr_b64 v[0:3], v0 offset0:110 offset1:144
	ds_load_2addr_b64 v[4:7], v36 offset0:50 offset1:84
	ds_load_2addr_b64 v[12:15], v36 offset0:118 offset1:152
	ds_load_2addr_b64 v[20:23], v36 offset0:186 offset1:220
	v_add_f32_e32 v48, v46, v38
	v_dual_add_f32 v50, v44, v38 :: v_dual_add_f32 v53, v45, v39
	v_dual_sub_f32 v52, v38, v44 :: v_dual_add_f32 v39, v49, v41
	s_delay_alu instid0(VALU_DEP_3) | instskip(SKIP_1) | instid1(VALU_DEP_3)
	v_add_f32_e32 v38, v48, v40
	v_mul_f32_e32 v48, 0xbeb8f4ab, v51
	v_dual_mul_f32 v54, 0xbf2c7751, v51 :: v_dual_mul_f32 v55, 0xbf2c7751, v52
	v_dual_mul_f32 v58, 0xbf7ee86f, v51 :: v_dual_mul_f32 v59, 0xbf7ee86f, v52
	;; [unrolled: 1-line block ×3, first 2 shown]
	s_delay_alu instid0(VALU_DEP_3)
	v_fma_f32 v70, 0x3f3d2fb0, v50, -v54
	s_waitcnt lgkmcnt(5)
	v_dual_add_f32 v38, v38, v16 :: v_dual_add_f32 v39, v39, v17
	v_mul_f32_e32 v49, 0xbeb8f4ab, v52
	v_fma_f32 v74, 0x3dbcf732, v50, -v58
	v_fmac_f32_e32 v54, 0x3f3d2fb0, v50
	s_delay_alu instid0(VALU_DEP_4)
	v_dual_add_f32 v38, v38, v18 :: v_dual_add_f32 v39, v39, v19
	v_fmamk_f32 v71, v53, 0x3f3d2fb0, v55
	v_fma_f32 v68, 0x3f6eb680, v50, -v48
	v_fma_f32 v76, 0xbe8c1d8e, v50, -v60
	s_waitcnt lgkmcnt(4)
	v_dual_add_f32 v38, v38, v8 :: v_dual_add_f32 v39, v39, v9
	v_dual_fmamk_f32 v69, v53, 0x3f6eb680, v49 :: v_dual_fmac_f32 v48, 0x3f6eb680, v50
	v_fma_f32 v49, 0x3f6eb680, v53, -v49
	s_delay_alu instid0(VALU_DEP_3) | instskip(SKIP_3) | instid1(VALU_DEP_3)
	v_dual_add_f32 v38, v38, v10 :: v_dual_add_f32 v39, v39, v11
	v_dual_mul_f32 v56, 0xbf65296c, v51 :: v_dual_mul_f32 v57, 0xbf65296c, v52
	v_fmac_f32_e32 v58, 0x3dbcf732, v50
	s_waitcnt lgkmcnt(3)
	v_dual_add_f32 v38, v38, v0 :: v_dual_add_f32 v39, v39, v1
	v_fmamk_f32 v75, v53, 0x3dbcf732, v59
	v_fmamk_f32 v73, v53, 0x3ee437d1, v57
	v_fmac_f32_e32 v60, 0xbe8c1d8e, v50
	s_delay_alu instid0(VALU_DEP_4)
	v_dual_add_f32 v38, v38, v2 :: v_dual_add_f32 v39, v39, v3
	v_fmamk_f32 v77, v53, 0xbe8c1d8e, v65
	v_fma_f32 v72, 0x3ee437d1, v50, -v56
	v_add_f32_e32 v68, v46, v68
	s_waitcnt lgkmcnt(2)
	v_dual_add_f32 v38, v38, v4 :: v_dual_add_f32 v39, v39, v5
	v_fmac_f32_e32 v56, 0x3ee437d1, v50
	v_dual_mul_f32 v66, 0xbf4c4adb, v51 :: v_dual_mul_f32 v67, 0xbf4c4adb, v52
	s_delay_alu instid0(VALU_DEP_3)
	v_dual_add_f32 v38, v38, v6 :: v_dual_add_f32 v39, v39, v7
	v_add_f32_e32 v49, v47, v49
	v_fma_f32 v59, 0x3dbcf732, v53, -v59
	v_add_f32_e32 v70, v46, v70
	s_waitcnt lgkmcnt(1)
	v_dual_add_f32 v38, v38, v12 :: v_dual_add_f32 v39, v39, v13
	v_fma_f32 v65, 0xbe8c1d8e, v53, -v65
	v_fma_f32 v78, 0xbf1a4643, v50, -v66
	s_delay_alu instid0(VALU_DEP_3) | instskip(NEXT) | instid1(VALU_DEP_4)
	v_dual_add_f32 v79, v43, v41 :: v_dual_add_f32 v38, v38, v14
	v_add_f32_e32 v39, v39, v15
	v_add_f32_e32 v73, v47, v73
	v_dual_sub_f32 v41, v41, v43 :: v_dual_fmac_f32 v66, 0xbf1a4643, v50
	s_waitcnt lgkmcnt(0)
	s_delay_alu instid0(VALU_DEP_3) | instskip(SKIP_3) | instid1(VALU_DEP_4)
	v_dual_add_f32 v38, v38, v20 :: v_dual_add_f32 v39, v39, v21
	v_add_f32_e32 v56, v46, v56
	v_fma_f32 v55, 0x3f3d2fb0, v53, -v55
	v_fma_f32 v57, 0x3ee437d1, v53, -v57
	v_dual_add_f32 v38, v38, v22 :: v_dual_add_f32 v39, v39, v23
	v_add_f32_e32 v59, v47, v59
	v_dual_add_f32 v69, v47, v69 :: v_dual_add_f32 v48, v46, v48
	s_delay_alu instid0(VALU_DEP_3) | instskip(SKIP_3) | instid1(VALU_DEP_4)
	v_dual_add_f32 v38, v38, v42 :: v_dual_add_f32 v39, v39, v43
	v_add_f32_e32 v76, v46, v76
	v_fma_f32 v43, 0xbf1a4643, v53, -v67
	v_add_f32_e32 v66, v46, v66
	v_dual_add_f32 v38, v38, v44 :: v_dual_add_f32 v39, v39, v45
	v_dual_add_f32 v44, v47, v65 :: v_dual_add_f32 v45, v46, v78
	v_dual_fmamk_f32 v65, v53, 0xbf1a4643, v67 :: v_dual_add_f32 v78, v42, v40
	v_sub_f32_e32 v40, v40, v42
	v_dual_mul_f32 v42, 0xbf06c442, v51 :: v_dual_mul_f32 v67, 0xbf06c442, v52
	v_dual_mul_f32 v51, 0xbe3c28d5, v51 :: v_dual_mul_f32 v52, 0xbe3c28d5, v52
	v_mul_f32_e32 v83, 0xbf2c7751, v41
	v_add_f32_e32 v65, v47, v65
	s_delay_alu instid0(VALU_DEP_4)
	v_fma_f32 v80, 0xbf59a7d5, v50, -v42
	v_dual_fmamk_f32 v81, v53, 0xbf59a7d5, v67 :: v_dual_fmac_f32 v42, 0xbf59a7d5, v50
	v_fma_f32 v67, 0xbf59a7d5, v53, -v67
	v_fma_f32 v82, 0xbf7ba420, v50, -v51
	v_dual_fmamk_f32 v84, v53, 0xbf7ba420, v52 :: v_dual_fmac_f32 v51, 0xbf7ba420, v50
	v_fma_f32 v50, 0xbf7ba420, v53, -v52
	v_mul_f32_e32 v52, 0xbf2c7751, v40
	v_fma_f32 v53, 0x3f3d2fb0, v78, -v83
	v_dual_add_f32 v71, v47, v71 :: v_dual_add_f32 v54, v46, v54
	v_dual_add_f32 v55, v47, v55 :: v_dual_add_f32 v72, v46, v72
	;; [unrolled: 1-line block ×8, first 2 shown]
	v_add_f32_e32 v84, v47, v84
	v_dual_add_f32 v46, v46, v51 :: v_dual_add_f32 v47, v47, v50
	v_dual_fmamk_f32 v50, v79, 0x3f3d2fb0, v52 :: v_dual_add_f32 v51, v53, v68
	v_mul_f32_e32 v53, 0xbf7ee86f, v41
	v_fmac_f32_e32 v83, 0x3f3d2fb0, v78
	v_fma_f32 v52, 0x3f3d2fb0, v79, -v52
	s_delay_alu instid0(VALU_DEP_4) | instskip(SKIP_2) | instid1(VALU_DEP_4)
	v_add_f32_e32 v50, v50, v69
	v_mul_f32_e32 v68, 0xbf7ee86f, v40
	v_fma_f32 v69, 0x3dbcf732, v78, -v53
	v_dual_add_f32 v48, v83, v48 :: v_dual_add_f32 v49, v52, v49
	v_fmac_f32_e32 v53, 0x3dbcf732, v78
	s_delay_alu instid0(VALU_DEP_3) | instskip(SKIP_2) | instid1(VALU_DEP_3)
	v_dual_fmamk_f32 v83, v79, 0x3dbcf732, v68 :: v_dual_add_f32 v52, v69, v70
	v_mul_f32_e32 v69, 0xbf4c4adb, v41
	v_fma_f32 v68, 0x3dbcf732, v79, -v68
	v_dual_add_f32 v70, v83, v71 :: v_dual_mul_f32 v71, 0xbf4c4adb, v40
	s_delay_alu instid0(VALU_DEP_3) | instskip(NEXT) | instid1(VALU_DEP_3)
	v_fma_f32 v83, 0xbf1a4643, v78, -v69
	v_dual_add_f32 v53, v53, v54 :: v_dual_add_f32 v54, v68, v55
	v_fmac_f32_e32 v69, 0xbf1a4643, v78
	s_delay_alu instid0(VALU_DEP_4) | instskip(NEXT) | instid1(VALU_DEP_4)
	v_fmamk_f32 v55, v79, 0xbf1a4643, v71
	v_add_f32_e32 v68, v83, v72
	v_dual_mul_f32 v72, 0xbe3c28d5, v41 :: v_dual_mul_f32 v83, 0xbe3c28d5, v40
	s_delay_alu instid0(VALU_DEP_3) | instskip(SKIP_1) | instid1(VALU_DEP_3)
	v_dual_add_f32 v56, v69, v56 :: v_dual_add_f32 v55, v55, v73
	v_fma_f32 v71, 0xbf1a4643, v79, -v71
	v_fma_f32 v73, 0xbf7ba420, v78, -v72
	s_delay_alu instid0(VALU_DEP_4) | instskip(SKIP_1) | instid1(VALU_DEP_3)
	v_dual_fmac_f32 v72, 0xbf7ba420, v78 :: v_dual_fmamk_f32 v69, v79, 0xbf7ba420, v83
	s_barrier
	v_add_f32_e32 v57, v71, v57
	buffer_gl0_inv
	v_dual_add_f32 v58, v72, v58 :: v_dual_add_f32 v69, v69, v75
	v_mul_f32_e32 v75, 0x3f06c442, v40
	v_add_f32_e32 v71, v73, v74
	v_fma_f32 v74, 0xbf7ba420, v79, -v83
	s_delay_alu instid0(VALU_DEP_1) | instskip(NEXT) | instid1(VALU_DEP_1)
	v_dual_fmamk_f32 v72, v79, 0xbf59a7d5, v75 :: v_dual_add_f32 v59, v74, v59
	v_add_f32_e32 v72, v72, v77
	v_fma_f32 v75, 0xbf59a7d5, v79, -v75
	s_delay_alu instid0(VALU_DEP_1) | instskip(NEXT) | instid1(VALU_DEP_1)
	v_dual_mul_f32 v73, 0x3f06c442, v41 :: v_dual_add_f32 v44, v75, v44
	v_fma_f32 v83, 0xbf59a7d5, v78, -v73
	s_delay_alu instid0(VALU_DEP_1) | instskip(SKIP_1) | instid1(VALU_DEP_2)
	v_dual_fmac_f32 v73, 0xbf59a7d5, v78 :: v_dual_add_f32 v74, v83, v76
	v_mul_f32_e32 v76, 0x3f763a35, v41
	v_add_f32_e32 v60, v73, v60
	s_delay_alu instid0(VALU_DEP_2) | instskip(SKIP_2) | instid1(VALU_DEP_2)
	v_fma_f32 v83, 0xbe8c1d8e, v78, -v76
	v_fmac_f32_e32 v76, 0xbe8c1d8e, v78
	v_mul_f32_e32 v77, 0x3f763a35, v40
	v_dual_add_f32 v45, v83, v45 :: v_dual_add_f32 v66, v76, v66
	s_delay_alu instid0(VALU_DEP_2) | instskip(SKIP_1) | instid1(VALU_DEP_2)
	v_fmamk_f32 v75, v79, 0xbe8c1d8e, v77
	v_fma_f32 v77, 0xbe8c1d8e, v79, -v77
	v_add_f32_e32 v65, v75, v65
	v_mul_f32_e32 v75, 0x3f65296c, v40
	s_delay_alu instid0(VALU_DEP_3) | instskip(NEXT) | instid1(VALU_DEP_2)
	v_dual_add_f32 v43, v77, v43 :: v_dual_mul_f32 v40, 0x3eb8f4ab, v40
	v_fmamk_f32 v77, v79, 0x3ee437d1, v75
	s_delay_alu instid0(VALU_DEP_1) | instskip(NEXT) | instid1(VALU_DEP_3)
	v_add_f32_e32 v77, v77, v81
	v_fmamk_f32 v81, v79, 0x3f6eb680, v40
	v_mul_f32_e32 v73, 0x3f65296c, v41
	v_mul_f32_e32 v41, 0x3eb8f4ab, v41
	v_fma_f32 v40, 0x3f6eb680, v79, -v40
	s_delay_alu instid0(VALU_DEP_3) | instskip(NEXT) | instid1(VALU_DEP_2)
	v_fma_f32 v83, 0x3ee437d1, v78, -v73
	v_dual_fmac_f32 v73, 0x3ee437d1, v78 :: v_dual_add_f32 v40, v40, v47
	v_fma_f32 v75, 0x3ee437d1, v79, -v75
	s_delay_alu instid0(VALU_DEP_3) | instskip(SKIP_1) | instid1(VALU_DEP_3)
	v_add_f32_e32 v76, v83, v80
	v_fma_f32 v80, 0x3f6eb680, v78, -v41
	v_dual_add_f32 v42, v73, v42 :: v_dual_add_f32 v67, v75, v67
	v_fmac_f32_e32 v41, 0x3f6eb680, v78
	s_delay_alu instid0(VALU_DEP_3) | instskip(SKIP_4) | instid1(VALU_DEP_3)
	v_dual_add_f32 v73, v80, v82 :: v_dual_add_f32 v80, v81, v84
	v_sub_f32_e32 v81, v16, v22
	v_dual_sub_f32 v75, v17, v23 :: v_dual_add_f32 v16, v22, v16
	v_add_f32_e32 v17, v23, v17
	v_add_f32_e32 v41, v41, v46
	v_dual_mul_f32 v23, 0xbf65296c, v81 :: v_dual_mul_f32 v22, 0xbf65296c, v75
	s_delay_alu instid0(VALU_DEP_1) | instskip(NEXT) | instid1(VALU_DEP_2)
	v_fmamk_f32 v46, v17, 0x3ee437d1, v23
	v_fma_f32 v78, 0x3ee437d1, v16, -v22
	v_fmac_f32_e32 v22, 0x3ee437d1, v16
	v_fma_f32 v23, 0x3ee437d1, v17, -v23
	s_delay_alu instid0(VALU_DEP_4) | instskip(NEXT) | instid1(VALU_DEP_4)
	v_add_f32_e32 v46, v46, v50
	v_add_f32_e32 v47, v78, v51
	v_dual_mul_f32 v51, 0xbf4c4adb, v75 :: v_dual_mul_f32 v50, 0xbf4c4adb, v81
	s_delay_alu instid0(VALU_DEP_4) | instskip(NEXT) | instid1(VALU_DEP_2)
	v_dual_add_f32 v22, v22, v48 :: v_dual_add_f32 v23, v23, v49
	v_fma_f32 v78, 0xbf1a4643, v16, -v51
	s_delay_alu instid0(VALU_DEP_1) | instskip(SKIP_2) | instid1(VALU_DEP_3)
	v_dual_fmamk_f32 v48, v17, 0xbf1a4643, v50 :: v_dual_add_f32 v49, v78, v52
	v_mul_f32_e32 v78, 0x3e3c28d5, v81
	v_mul_f32_e32 v52, 0x3e3c28d5, v75
	v_add_f32_e32 v48, v48, v70
	v_fma_f32 v50, 0xbf1a4643, v17, -v50
	s_delay_alu instid0(VALU_DEP_3) | instskip(SKIP_1) | instid1(VALU_DEP_3)
	v_fma_f32 v70, 0xbf7ba420, v16, -v52
	v_fmac_f32_e32 v52, 0xbf7ba420, v16
	v_add_f32_e32 v50, v50, v54
	s_delay_alu instid0(VALU_DEP_3) | instskip(SKIP_1) | instid1(VALU_DEP_4)
	v_add_f32_e32 v54, v70, v68
	v_mul_f32_e32 v70, 0x3f763a35, v81
	v_add_f32_e32 v52, v52, v56
	v_mul_f32_e32 v68, 0x3f763a35, v75
	s_delay_alu instid0(VALU_DEP_3) | instskip(NEXT) | instid1(VALU_DEP_1)
	v_fmamk_f32 v56, v17, 0xbe8c1d8e, v70
	v_dual_add_f32 v56, v56, v69 :: v_dual_fmac_f32 v51, 0xbf1a4643, v16
	v_fma_f32 v69, 0xbe8c1d8e, v17, -v70
	s_delay_alu instid0(VALU_DEP_2) | instskip(SKIP_1) | instid1(VALU_DEP_1)
	v_add_f32_e32 v51, v51, v53
	v_fmamk_f32 v53, v17, 0xbf7ba420, v78
	v_add_f32_e32 v53, v53, v55
	v_fma_f32 v55, 0xbf7ba420, v17, -v78
	v_fma_f32 v78, 0xbe8c1d8e, v16, -v68
	s_delay_alu instid0(VALU_DEP_2) | instskip(NEXT) | instid1(VALU_DEP_2)
	v_dual_fmac_f32 v68, 0xbe8c1d8e, v16 :: v_dual_add_f32 v55, v55, v57
	v_dual_add_f32 v57, v78, v71 :: v_dual_mul_f32 v78, 0x3f2c7751, v81
	s_delay_alu instid0(VALU_DEP_2) | instskip(NEXT) | instid1(VALU_DEP_2)
	v_add_f32_e32 v58, v68, v58
	v_fmamk_f32 v68, v17, 0x3f3d2fb0, v78
	s_delay_alu instid0(VALU_DEP_1) | instskip(SKIP_1) | instid1(VALU_DEP_1)
	v_add_f32_e32 v68, v68, v72
	v_fma_f32 v72, 0x3f3d2fb0, v17, -v78
	v_dual_mul_f32 v71, 0x3f2c7751, v75 :: v_dual_add_f32 v44, v72, v44
	s_delay_alu instid0(VALU_DEP_1) | instskip(SKIP_2) | instid1(VALU_DEP_3)
	v_fma_f32 v70, 0x3f3d2fb0, v16, -v71
	v_fmac_f32_e32 v71, 0x3f3d2fb0, v16
	v_add_f32_e32 v59, v69, v59
	v_dual_mul_f32 v72, 0xbf7ee86f, v75 :: v_dual_add_f32 v69, v70, v74
	v_mul_f32_e32 v70, 0xbeb8f4ab, v75
	v_mul_f32_e32 v74, 0xbeb8f4ab, v81
	s_delay_alu instid0(VALU_DEP_2) | instskip(NEXT) | instid1(VALU_DEP_1)
	v_fma_f32 v78, 0x3f6eb680, v16, -v70
	v_dual_fmac_f32 v70, 0x3f6eb680, v16 :: v_dual_add_f32 v45, v78, v45
	s_delay_alu instid0(VALU_DEP_1) | instskip(NEXT) | instid1(VALU_DEP_4)
	v_add_f32_e32 v66, v70, v66
	v_dual_add_f32 v60, v71, v60 :: v_dual_fmamk_f32 v71, v17, 0x3f6eb680, v74
	v_fma_f32 v74, 0x3f6eb680, v17, -v74
	v_fma_f32 v78, 0x3dbcf732, v16, -v72
	v_mul_f32_e32 v70, 0xbf06c442, v75
	s_delay_alu instid0(VALU_DEP_4) | instskip(SKIP_1) | instid1(VALU_DEP_4)
	v_dual_fmac_f32 v72, 0x3dbcf732, v16 :: v_dual_add_f32 v65, v71, v65
	v_mul_f32_e32 v71, 0xbf7ee86f, v81
	v_add_f32_e32 v75, v78, v76
	s_delay_alu instid0(VALU_DEP_4) | instskip(NEXT) | instid1(VALU_DEP_4)
	v_fma_f32 v76, 0xbf59a7d5, v16, -v70
	v_dual_add_f32 v42, v72, v42 :: v_dual_add_f32 v43, v74, v43
	s_delay_alu instid0(VALU_DEP_4)
	v_fmamk_f32 v74, v17, 0x3dbcf732, v71
	v_fma_f32 v71, 0x3dbcf732, v17, -v71
	v_fmac_f32_e32 v70, 0xbf59a7d5, v16
	v_sub_f32_e32 v16, v18, v20
	v_add_f32_e32 v18, v20, v18
	v_add_f32_e32 v74, v74, v77
	v_mul_f32_e32 v77, 0xbf06c442, v81
	v_add_f32_e32 v67, v71, v67
	v_add_f32_e32 v71, v76, v73
	v_dual_sub_f32 v72, v19, v21 :: v_dual_add_f32 v19, v21, v19
	s_delay_alu instid0(VALU_DEP_4) | instskip(SKIP_2) | instid1(VALU_DEP_4)
	v_fmamk_f32 v73, v17, 0xbf59a7d5, v77
	v_fma_f32 v17, 0xbf59a7d5, v17, -v77
	v_mul_f32_e32 v21, 0xbf7ee86f, v16
	v_dual_mul_f32 v20, 0xbf7ee86f, v72 :: v_dual_add_f32 v41, v70, v41
	s_delay_alu instid0(VALU_DEP_4) | instskip(NEXT) | instid1(VALU_DEP_3)
	v_add_f32_e32 v73, v73, v80
	v_dual_add_f32 v17, v17, v40 :: v_dual_fmamk_f32 v40, v19, 0x3dbcf732, v21
	s_delay_alu instid0(VALU_DEP_3) | instskip(SKIP_2) | instid1(VALU_DEP_4)
	v_fma_f32 v76, 0x3dbcf732, v18, -v20
	v_fmac_f32_e32 v20, 0x3dbcf732, v18
	v_mul_f32_e32 v70, 0xbe3c28d5, v72
	v_add_f32_e32 v40, v40, v46
	s_delay_alu instid0(VALU_DEP_4) | instskip(SKIP_1) | instid1(VALU_DEP_4)
	v_add_f32_e32 v47, v76, v47
	v_fma_f32 v21, 0x3dbcf732, v19, -v21
	v_fma_f32 v46, 0xbf7ba420, v18, -v70
	v_mul_f32_e32 v76, 0xbe3c28d5, v16
	v_add_f32_e32 v20, v20, v22
	s_delay_alu instid0(VALU_DEP_4) | instskip(NEXT) | instid1(VALU_DEP_4)
	v_dual_fmac_f32 v70, 0xbf7ba420, v18 :: v_dual_add_f32 v21, v21, v23
	v_add_f32_e32 v23, v46, v49
	s_delay_alu instid0(VALU_DEP_4) | instskip(SKIP_3) | instid1(VALU_DEP_4)
	v_fma_f32 v49, 0xbf7ba420, v19, -v76
	v_mul_f32_e32 v22, 0x3f763a35, v72
	v_fmamk_f32 v46, v19, 0xbf7ba420, v76
	v_mul_f32_e32 v77, 0x3f763a35, v16
	v_add_f32_e32 v49, v49, v50
	s_delay_alu instid0(VALU_DEP_4) | instskip(NEXT) | instid1(VALU_DEP_4)
	v_fma_f32 v76, 0xbe8c1d8e, v18, -v22
	v_add_f32_e32 v46, v46, v48
	s_delay_alu instid0(VALU_DEP_4) | instskip(SKIP_1) | instid1(VALU_DEP_4)
	v_dual_add_f32 v48, v70, v51 :: v_dual_fmamk_f32 v51, v19, 0xbe8c1d8e, v77
	v_fmac_f32_e32 v22, 0xbe8c1d8e, v18
	v_add_f32_e32 v50, v76, v54
	v_mul_f32_e32 v54, 0x3eb8f4ab, v72
	v_fma_f32 v70, 0xbe8c1d8e, v19, -v77
	v_dual_mul_f32 v76, 0x3eb8f4ab, v16 :: v_dual_add_f32 v51, v51, v53
	v_add_f32_e32 v22, v22, v52
	s_delay_alu instid0(VALU_DEP_4) | instskip(NEXT) | instid1(VALU_DEP_4)
	v_fma_f32 v53, 0x3f6eb680, v18, -v54
	v_dual_add_f32 v52, v70, v55 :: v_dual_mul_f32 v77, 0xbf06c442, v16
	s_delay_alu instid0(VALU_DEP_4) | instskip(NEXT) | instid1(VALU_DEP_3)
	v_fmamk_f32 v55, v19, 0x3f6eb680, v76
	v_dual_mul_f32 v70, 0xbf65296c, v72 :: v_dual_add_f32 v53, v53, v57
	v_fma_f32 v57, 0x3f6eb680, v19, -v76
	v_mul_f32_e32 v76, 0xbf65296c, v16
	s_delay_alu instid0(VALU_DEP_4) | instskip(NEXT) | instid1(VALU_DEP_4)
	v_add_f32_e32 v55, v55, v56
	v_fma_f32 v56, 0x3ee437d1, v18, -v70
	s_delay_alu instid0(VALU_DEP_4) | instskip(NEXT) | instid1(VALU_DEP_4)
	v_add_f32_e32 v57, v57, v59
	v_fmamk_f32 v59, v19, 0x3ee437d1, v76
	v_fmac_f32_e32 v54, 0x3f6eb680, v18
	s_delay_alu instid0(VALU_DEP_4) | instskip(SKIP_1) | instid1(VALU_DEP_3)
	v_add_f32_e32 v56, v56, v69
	v_fma_f32 v69, 0x3ee437d1, v19, -v76
	v_dual_add_f32 v59, v59, v68 :: v_dual_add_f32 v54, v54, v58
	v_mul_f32_e32 v58, 0xbf06c442, v72
	s_delay_alu instid0(VALU_DEP_3) | instskip(SKIP_2) | instid1(VALU_DEP_4)
	v_add_f32_e32 v44, v69, v44
	v_fmamk_f32 v68, v19, 0xbf59a7d5, v77
	v_mul_f32_e32 v69, 0x3f4c4adb, v72
	v_fma_f32 v76, 0xbf59a7d5, v18, -v58
	s_delay_alu instid0(VALU_DEP_3) | instskip(NEXT) | instid1(VALU_DEP_3)
	v_add_f32_e32 v65, v68, v65
	v_fma_f32 v68, 0xbf1a4643, v18, -v69
	v_fmac_f32_e32 v69, 0xbf1a4643, v18
	s_delay_alu instid0(VALU_DEP_4) | instskip(SKIP_1) | instid1(VALU_DEP_3)
	v_dual_add_f32 v45, v76, v45 :: v_dual_fmac_f32 v70, 0x3ee437d1, v18
	v_fma_f32 v76, 0xbf59a7d5, v19, -v77
	v_add_f32_e32 v42, v69, v42
	v_sub_f32_e32 v69, v9, v15
	s_delay_alu instid0(VALU_DEP_4) | instskip(NEXT) | instid1(VALU_DEP_4)
	v_dual_add_f32 v9, v15, v9 :: v_dual_add_f32 v60, v70, v60
	v_dual_mul_f32 v70, 0x3f4c4adb, v16 :: v_dual_add_f32 v43, v76, v43
	v_fmac_f32_e32 v58, 0xbf59a7d5, v18
	v_mul_f32_e32 v72, 0x3f2c7751, v72
	v_mul_f32_e32 v16, 0x3f2c7751, v16
	s_delay_alu instid0(VALU_DEP_3) | instskip(SKIP_2) | instid1(VALU_DEP_2)
	v_add_f32_e32 v58, v58, v66
	v_fmamk_f32 v66, v19, 0xbf1a4643, v70
	v_fma_f32 v70, 0xbf1a4643, v19, -v70
	v_add_f32_e32 v66, v66, v74
	v_fma_f32 v74, 0x3f3d2fb0, v18, -v72
	s_delay_alu instid0(VALU_DEP_3) | instskip(NEXT) | instid1(VALU_DEP_2)
	v_dual_add_f32 v67, v70, v67 :: v_dual_fmac_f32 v72, 0x3f3d2fb0, v18
	v_add_f32_e32 v70, v74, v71
	v_add_f32_e32 v74, v14, v8
	v_dual_sub_f32 v8, v8, v14 :: v_dual_fmamk_f32 v71, v19, 0x3f3d2fb0, v16
	v_fma_f32 v14, 0x3f3d2fb0, v19, -v16
	v_add_f32_e32 v19, v72, v41
	v_mul_f32_e32 v41, 0x3f06c442, v69
	s_delay_alu instid0(VALU_DEP_4) | instskip(SKIP_1) | instid1(VALU_DEP_2)
	v_mul_f32_e32 v16, 0xbf763a35, v8
	v_dual_add_f32 v68, v68, v75 :: v_dual_mul_f32 v75, 0xbf763a35, v69
	v_dual_add_f32 v14, v14, v17 :: v_dual_fmamk_f32 v17, v9, 0xbe8c1d8e, v16
	v_fma_f32 v16, 0xbe8c1d8e, v9, -v16
	s_delay_alu instid0(VALU_DEP_3) | instskip(NEXT) | instid1(VALU_DEP_2)
	v_fma_f32 v15, 0xbe8c1d8e, v74, -v75
	v_dual_add_f32 v17, v17, v40 :: v_dual_add_f32 v16, v16, v21
	s_delay_alu instid0(VALU_DEP_2) | instskip(SKIP_1) | instid1(VALU_DEP_1)
	v_add_f32_e32 v15, v15, v47
	v_mul_f32_e32 v47, 0x3f06c442, v8
	v_dual_fmamk_f32 v21, v9, 0xbf59a7d5, v47 :: v_dual_add_f32 v18, v71, v73
	v_fma_f32 v40, 0xbf59a7d5, v74, -v41
	v_fmac_f32_e32 v41, 0xbf59a7d5, v74
	v_mul_f32_e32 v71, 0x3f2c7751, v69
	v_fmac_f32_e32 v75, 0xbe8c1d8e, v74
	v_add_f32_e32 v21, v21, v46
	v_add_f32_e32 v23, v40, v23
	v_fma_f32 v40, 0xbf59a7d5, v9, -v47
	v_add_f32_e32 v41, v41, v48
	v_mul_f32_e32 v47, 0x3f2c7751, v8
	v_mul_f32_e32 v72, 0xbf65296c, v8
	v_fma_f32 v46, 0x3f3d2fb0, v74, -v71
	v_add_f32_e32 v40, v40, v49
	v_dual_add_f32 v20, v75, v20 :: v_dual_fmac_f32 v71, 0x3f3d2fb0, v74
	v_fmamk_f32 v49, v9, 0x3f3d2fb0, v47
	v_fma_f32 v47, 0x3f3d2fb0, v9, -v47
	v_add_f32_e32 v46, v46, v50
	s_delay_alu instid0(VALU_DEP_3) | instskip(SKIP_1) | instid1(VALU_DEP_4)
	v_dual_add_f32 v22, v71, v22 :: v_dual_add_f32 v49, v49, v51
	v_fmamk_f32 v51, v9, 0x3ee437d1, v72
	v_dual_mul_f32 v48, 0xbf65296c, v69 :: v_dual_add_f32 v47, v47, v52
	v_dual_mul_f32 v52, 0xbe3c28d5, v69 :: v_dual_mul_f32 v71, 0xbe3c28d5, v8
	s_delay_alu instid0(VALU_DEP_3) | instskip(NEXT) | instid1(VALU_DEP_3)
	v_add_f32_e32 v51, v51, v55
	v_fma_f32 v50, 0x3ee437d1, v74, -v48
	v_fmac_f32_e32 v48, 0x3ee437d1, v74
	s_delay_alu instid0(VALU_DEP_4) | instskip(NEXT) | instid1(VALU_DEP_3)
	v_fma_f32 v55, 0xbf7ba420, v74, -v52
	v_add_f32_e32 v50, v50, v53
	v_fma_f32 v53, 0x3ee437d1, v9, -v72
	s_delay_alu instid0(VALU_DEP_3) | instskip(SKIP_2) | instid1(VALU_DEP_4)
	v_dual_add_f32 v55, v55, v56 :: v_dual_add_f32 v48, v48, v54
	v_fmamk_f32 v54, v9, 0xbf7ba420, v71
	v_fma_f32 v56, 0xbf7ba420, v9, -v71
	v_add_f32_e32 v53, v53, v57
	v_mul_f32_e32 v57, 0x3f7ee86f, v69
	s_delay_alu instid0(VALU_DEP_4) | instskip(NEXT) | instid1(VALU_DEP_4)
	v_dual_mul_f32 v71, 0x3f7ee86f, v8 :: v_dual_add_f32 v54, v54, v59
	v_add_f32_e32 v44, v56, v44
	v_mul_f32_e32 v56, 0xbeb8f4ab, v69
	s_delay_alu instid0(VALU_DEP_4) | instskip(SKIP_2) | instid1(VALU_DEP_3)
	v_fma_f32 v59, 0x3dbcf732, v74, -v57
	v_fmac_f32_e32 v57, 0x3dbcf732, v74
	v_mul_f32_e32 v72, 0xbeb8f4ab, v8
	v_dual_mul_f32 v8, 0xbf4c4adb, v8 :: v_dual_add_f32 v45, v59, v45
	s_delay_alu instid0(VALU_DEP_3) | instskip(SKIP_1) | instid1(VALU_DEP_1)
	v_add_f32_e32 v57, v57, v58
	v_fmac_f32_e32 v52, 0xbf7ba420, v74
	v_dual_fmamk_f32 v59, v9, 0x3dbcf732, v71 :: v_dual_add_f32 v52, v52, v60
	v_fma_f32 v60, 0x3dbcf732, v9, -v71
	v_fma_f32 v71, 0x3f6eb680, v74, -v56
	s_delay_alu instid0(VALU_DEP_3)
	v_add_f32_e32 v59, v59, v65
	v_mul_f32_e32 v65, 0xbf4c4adb, v69
	v_fmamk_f32 v69, v9, 0xbf1a4643, v8
	v_dual_add_f32 v43, v60, v43 :: v_dual_fmamk_f32 v60, v9, 0x3f6eb680, v72
	v_add_f32_e32 v58, v71, v68
	v_fma_f32 v68, 0x3f6eb680, v9, -v72
	v_fma_f32 v8, 0xbf1a4643, v9, -v8
	s_delay_alu instid0(VALU_DEP_4)
	v_dual_add_f32 v9, v13, v11 :: v_dual_add_f32 v60, v60, v66
	v_fma_f32 v66, 0xbf1a4643, v74, -v65
	v_fmac_f32_e32 v65, 0xbf1a4643, v74
	v_fmac_f32_e32 v56, 0x3f6eb680, v74
	v_add_f32_e32 v8, v8, v14
	v_lshl_add_u32 v71, v35, 3, v63
	s_delay_alu instid0(VALU_DEP_3) | instskip(SKIP_3) | instid1(VALU_DEP_3)
	v_dual_add_f32 v19, v65, v19 :: v_dual_add_f32 v42, v56, v42
	v_dual_add_f32 v56, v68, v67 :: v_dual_sub_f32 v67, v11, v13
	v_add_f32_e32 v68, v12, v10
	v_sub_f32_e32 v10, v10, v12
	v_mul_f32_e32 v12, 0xbf4c4adb, v67
	v_mul_f32_e32 v14, 0x3f763a35, v67
	s_delay_alu instid0(VALU_DEP_3) | instskip(NEXT) | instid1(VALU_DEP_3)
	v_mul_f32_e32 v11, 0xbf4c4adb, v10
	v_fma_f32 v13, 0xbf1a4643, v68, -v12
	s_delay_alu instid0(VALU_DEP_2) | instskip(SKIP_1) | instid1(VALU_DEP_2)
	v_dual_fmac_f32 v12, 0xbf1a4643, v68 :: v_dual_fmamk_f32 v65, v9, 0xbf1a4643, v11
	v_fma_f32 v11, 0xbf1a4643, v9, -v11
	v_dual_add_f32 v13, v13, v15 :: v_dual_add_f32 v12, v12, v20
	s_delay_alu instid0(VALU_DEP_3) | instskip(SKIP_4) | instid1(VALU_DEP_3)
	v_add_f32_e32 v17, v65, v17
	v_mul_f32_e32 v65, 0x3f763a35, v10
	v_fma_f32 v15, 0xbe8c1d8e, v68, -v14
	v_dual_add_f32 v66, v66, v70 :: v_dual_add_f32 v11, v11, v16
	v_mul_f32_e32 v16, 0xbeb8f4ab, v67
	v_dual_fmamk_f32 v20, v9, 0xbe8c1d8e, v65 :: v_dual_add_f32 v15, v15, v23
	v_fma_f32 v23, 0xbe8c1d8e, v9, -v65
	v_mul_f32_e32 v65, 0xbeb8f4ab, v10
	v_add_f32_e32 v18, v69, v18
	s_delay_alu instid0(VALU_DEP_4)
	v_add_f32_e32 v20, v20, v21
	v_lshl_add_u32 v70, v37, 3, v63
	v_add_f32_e32 v21, v23, v40
	v_fmamk_f32 v23, v9, 0x3f6eb680, v65
	v_fmac_f32_e32 v14, 0xbe8c1d8e, v68
	v_fma_f32 v69, 0x3f6eb680, v68, -v16
	s_delay_alu instid0(VALU_DEP_3) | instskip(NEXT) | instid1(VALU_DEP_3)
	v_add_f32_e32 v23, v23, v49
	v_dual_add_f32 v14, v14, v41 :: v_dual_mul_f32 v41, 0xbf06c442, v67
	s_delay_alu instid0(VALU_DEP_3) | instskip(SKIP_2) | instid1(VALU_DEP_4)
	v_add_f32_e32 v40, v69, v46
	v_fma_f32 v46, 0x3f6eb680, v9, -v65
	v_mul_f32_e32 v49, 0xbf06c442, v10
	v_fma_f32 v65, 0xbf59a7d5, v68, -v41
	v_fmac_f32_e32 v41, 0xbf59a7d5, v68
	s_delay_alu instid0(VALU_DEP_1) | instskip(SKIP_1) | instid1(VALU_DEP_1)
	v_add_f32_e32 v41, v41, v48
	v_fmac_f32_e32 v16, 0x3f6eb680, v68
	v_add_f32_e32 v16, v16, v22
	v_dual_add_f32 v22, v46, v47 :: v_dual_fmamk_f32 v47, v9, 0xbf59a7d5, v49
	v_fma_f32 v49, 0xbf59a7d5, v9, -v49
	s_delay_alu instid0(VALU_DEP_2) | instskip(NEXT) | instid1(VALU_DEP_2)
	v_add_f32_e32 v47, v47, v51
	v_dual_mul_f32 v51, 0x3f7ee86f, v10 :: v_dual_add_f32 v48, v49, v53
	v_dual_mul_f32 v53, 0xbf2c7751, v67 :: v_dual_add_f32 v50, v65, v50
	s_delay_alu instid0(VALU_DEP_1) | instskip(SKIP_1) | instid1(VALU_DEP_2)
	v_fma_f32 v69, 0x3f3d2fb0, v68, -v53
	v_fmac_f32_e32 v53, 0x3f3d2fb0, v68
	v_dual_mul_f32 v46, 0x3f7ee86f, v67 :: v_dual_add_f32 v45, v69, v45
	s_delay_alu instid0(VALU_DEP_2) | instskip(NEXT) | instid1(VALU_DEP_2)
	v_add_f32_e32 v53, v53, v57
	v_fma_f32 v65, 0x3dbcf732, v68, -v46
	v_lshl_add_u32 v69, v33, 3, v63
	s_delay_alu instid0(VALU_DEP_2) | instskip(SKIP_3) | instid1(VALU_DEP_3)
	v_add_f32_e32 v49, v65, v55
	v_fmamk_f32 v55, v9, 0x3dbcf732, v51
	v_fma_f32 v51, 0x3dbcf732, v9, -v51
	v_mul_f32_e32 v65, 0xbf2c7751, v10
	v_add_f32_e32 v54, v55, v54
	s_delay_alu instid0(VALU_DEP_2) | instskip(SKIP_2) | instid1(VALU_DEP_2)
	v_dual_add_f32 v44, v51, v44 :: v_dual_fmamk_f32 v51, v9, 0x3f3d2fb0, v65
	v_fmac_f32_e32 v46, 0x3dbcf732, v68
	v_fma_f32 v55, 0x3f3d2fb0, v9, -v65
	v_dual_add_f32 v51, v51, v59 :: v_dual_add_f32 v46, v46, v52
	v_mul_f32_e32 v59, 0xbe3c28d5, v10
	v_mul_f32_e32 v10, 0x3f65296c, v10
	s_delay_alu instid0(VALU_DEP_2) | instskip(SKIP_2) | instid1(VALU_DEP_3)
	v_fmamk_f32 v57, v9, 0xbf7ba420, v59
	v_mul_f32_e32 v52, 0xbe3c28d5, v67
	v_fma_f32 v59, 0xbf7ba420, v9, -v59
	v_add_f32_e32 v57, v57, v60
	s_delay_alu instid0(VALU_DEP_3)
	v_fma_f32 v65, 0xbf7ba420, v68, -v52
	v_add_f32_e32 v43, v55, v43
	v_mul_f32_e32 v55, 0x3f65296c, v67
	v_fmac_f32_e32 v52, 0xbf7ba420, v68
	v_lshl_add_u32 v67, v31, 3, v63
	v_add_f32_e32 v58, v65, v58
	s_delay_alu instid0(VALU_DEP_4) | instskip(NEXT) | instid1(VALU_DEP_4)
	v_fma_f32 v65, 0x3ee437d1, v68, -v55
	v_dual_add_f32 v42, v52, v42 :: v_dual_fmac_f32 v55, 0x3ee437d1, v68
	v_dual_add_f32 v52, v59, v56 :: v_dual_sub_f32 v59, v1, v7
	s_delay_alu instid0(VALU_DEP_3) | instskip(SKIP_1) | instid1(VALU_DEP_4)
	v_dual_add_f32 v56, v65, v66 :: v_dual_add_f32 v1, v7, v1
	v_dual_sub_f32 v65, v0, v6 :: v_dual_fmamk_f32 v60, v9, 0x3ee437d1, v10
	v_dual_add_f32 v19, v55, v19 :: v_dual_add_f32 v0, v6, v0
	s_delay_alu instid0(VALU_DEP_4) | instskip(SKIP_1) | instid1(VALU_DEP_4)
	v_mul_f32_e32 v6, 0xbf06c442, v59
	v_fma_f32 v9, 0x3ee437d1, v9, -v10
	v_dual_mul_f32 v7, 0xbf06c442, v65 :: v_dual_add_f32 v10, v60, v18
	v_mul_f32_e32 v55, 0x3f65296c, v59
	s_delay_alu instid0(VALU_DEP_4) | instskip(NEXT) | instid1(VALU_DEP_4)
	v_fma_f32 v18, 0xbf59a7d5, v0, -v6
	v_add_f32_e32 v8, v9, v8
	s_delay_alu instid0(VALU_DEP_4) | instskip(SKIP_3) | instid1(VALU_DEP_4)
	v_fmamk_f32 v9, v1, 0xbf59a7d5, v7
	v_fma_f32 v7, 0xbf59a7d5, v1, -v7
	v_lshl_add_u32 v68, v32, 3, v63
	v_dual_add_f32 v13, v18, v13 :: v_dual_fmac_f32 v6, 0xbf59a7d5, v0
	v_add_f32_e32 v9, v9, v17
	v_fma_f32 v17, 0x3ee437d1, v0, -v55
	v_dual_mul_f32 v18, 0x3f65296c, v65 :: v_dual_add_f32 v7, v7, v11
	s_delay_alu instid0(VALU_DEP_4) | instskip(NEXT) | instid1(VALU_DEP_3)
	v_dual_add_f32 v6, v6, v12 :: v_dual_mul_f32 v11, 0xbf7ee86f, v59
	v_dual_add_f32 v12, v17, v15 :: v_dual_fmac_f32 v55, 0x3ee437d1, v0
	s_delay_alu instid0(VALU_DEP_3) | instskip(SKIP_1) | instid1(VALU_DEP_4)
	v_fmamk_f32 v15, v1, 0x3ee437d1, v18
	v_fma_f32 v17, 0x3ee437d1, v1, -v18
	v_fma_f32 v18, 0x3dbcf732, v0, -v11
	s_delay_alu instid0(VALU_DEP_4) | instskip(NEXT) | instid1(VALU_DEP_4)
	v_dual_fmac_f32 v11, 0x3dbcf732, v0 :: v_dual_add_f32 v14, v55, v14
	v_dual_mul_f32 v60, 0xbf7ee86f, v65 :: v_dual_add_f32 v15, v15, v20
	s_delay_alu instid0(VALU_DEP_3) | instskip(NEXT) | instid1(VALU_DEP_2)
	v_dual_add_f32 v17, v17, v21 :: v_dual_add_f32 v18, v18, v40
	v_fmamk_f32 v20, v1, 0x3dbcf732, v60
	v_fma_f32 v40, 0x3dbcf732, v1, -v60
	v_mul_f32_e32 v21, 0x3f4c4adb, v59
	v_mul_f32_e32 v55, 0x3f4c4adb, v65
	;; [unrolled: 1-line block ×3, first 2 shown]
	v_dual_add_f32 v20, v20, v23 :: v_dual_add_f32 v11, v11, v16
	v_add_f32_e32 v16, v40, v22
	s_delay_alu instid0(VALU_DEP_4) | instskip(SKIP_2) | instid1(VALU_DEP_3)
	v_fmamk_f32 v22, v1, 0xbf1a4643, v55
	v_fma_f32 v23, 0xbf1a4643, v0, -v21
	v_mul_f32_e32 v40, 0xbeb8f4ab, v59
	v_dual_fmac_f32 v21, 0xbf1a4643, v0 :: v_dual_add_f32 v22, v22, v47
	s_delay_alu instid0(VALU_DEP_3) | instskip(SKIP_1) | instid1(VALU_DEP_4)
	v_add_f32_e32 v23, v23, v50
	v_fma_f32 v50, 0xbf1a4643, v1, -v55
	v_fma_f32 v47, 0x3f6eb680, v0, -v40
	s_delay_alu instid0(VALU_DEP_4) | instskip(SKIP_1) | instid1(VALU_DEP_4)
	v_dual_add_f32 v21, v21, v41 :: v_dual_fmac_f32 v40, 0x3f6eb680, v0
	v_mul_f32_e32 v55, 0xbeb8f4ab, v65
	v_dual_add_f32 v41, v50, v48 :: v_dual_mul_f32 v48, 0xbe3c28d5, v59
	s_delay_alu instid0(VALU_DEP_3) | instskip(NEXT) | instid1(VALU_DEP_3)
	v_dual_add_f32 v47, v47, v49 :: v_dual_add_f32 v40, v40, v46
	v_fma_f32 v50, 0x3f6eb680, v1, -v55
	v_fmamk_f32 v49, v1, 0x3f6eb680, v55
	s_delay_alu instid0(VALU_DEP_4) | instskip(SKIP_1) | instid1(VALU_DEP_3)
	v_fma_f32 v55, 0xbf7ba420, v0, -v48
	v_fmamk_f32 v46, v1, 0xbf7ba420, v60
	v_dual_add_f32 v44, v50, v44 :: v_dual_add_f32 v49, v49, v54
	s_delay_alu instid0(VALU_DEP_3) | instskip(SKIP_3) | instid1(VALU_DEP_4)
	v_dual_mul_f32 v50, 0x3f2c7751, v59 :: v_dual_add_f32 v45, v55, v45
	v_fma_f32 v55, 0xbf7ba420, v1, -v60
	v_fmac_f32_e32 v48, 0xbf7ba420, v0
	v_add_f32_e32 v46, v46, v51
	v_fma_f32 v51, 0x3f3d2fb0, v0, -v50
	s_delay_alu instid0(VALU_DEP_4) | instskip(NEXT) | instid1(VALU_DEP_4)
	v_dual_mul_f32 v54, 0x3f2c7751, v65 :: v_dual_add_f32 v55, v55, v43
	v_dual_add_f32 v48, v48, v53 :: v_dual_mul_f32 v43, 0xbf763a35, v59
	s_delay_alu instid0(VALU_DEP_3) | instskip(NEXT) | instid1(VALU_DEP_3)
	v_add_f32_e32 v51, v51, v58
	v_fmamk_f32 v53, v1, 0x3f3d2fb0, v54
	v_fmac_f32_e32 v50, 0x3f3d2fb0, v0
	v_fma_f32 v54, 0x3f3d2fb0, v1, -v54
	v_sub_f32_e32 v59, v3, v5
	s_delay_alu instid0(VALU_DEP_4)
	v_add_f32_e32 v53, v53, v57
	v_fma_f32 v57, 0xbe8c1d8e, v0, -v43
	v_add_f32_e32 v50, v50, v42
	v_add_f32_e32 v52, v54, v52
	v_fmac_f32_e32 v43, 0xbe8c1d8e, v0
	v_mul_f32_e32 v58, 0xbf763a35, v65
	v_add_f32_e32 v54, v57, v56
	v_dual_add_f32 v56, v4, v2 :: v_dual_mul_f32 v57, 0xbe3c28d5, v59
	s_delay_alu instid0(VALU_DEP_4) | instskip(NEXT) | instid1(VALU_DEP_4)
	v_dual_sub_f32 v2, v2, v4 :: v_dual_add_f32 v65, v43, v19
	v_fma_f32 v0, 0xbe8c1d8e, v1, -v58
	v_fmamk_f32 v42, v1, 0xbe8c1d8e, v58
	v_add_f32_e32 v58, v5, v3
	v_fma_f32 v1, 0xbf7ba420, v56, -v57
	v_fmac_f32_e32 v57, 0xbf7ba420, v56
	v_dual_mul_f32 v3, 0xbe3c28d5, v2 :: v_dual_add_f32 v66, v0, v8
	v_mul_f32_e32 v8, 0x3eb8f4ab, v59
	s_delay_alu instid0(VALU_DEP_4) | instskip(NEXT) | instid1(VALU_DEP_3)
	v_dual_add_f32 v0, v1, v13 :: v_dual_mul_f32 v13, 0xbf06c442, v59
	v_fmamk_f32 v1, v58, 0xbf7ba420, v3
	v_fma_f32 v4, 0xbf7ba420, v58, -v3
	v_add_f32_e32 v3, v57, v6
	v_fma_f32 v5, 0x3f6eb680, v56, -v8
	s_delay_alu instid0(VALU_DEP_4) | instskip(NEXT) | instid1(VALU_DEP_2)
	v_dual_fmac_f32 v8, 0x3f6eb680, v56 :: v_dual_add_f32 v1, v1, v9
	v_dual_add_f32 v4, v4, v7 :: v_dual_add_f32 v5, v5, v12
	s_delay_alu instid0(VALU_DEP_2) | instskip(SKIP_2) | instid1(VALU_DEP_1)
	v_add_f32_e32 v7, v8, v14
	v_add_f32_e32 v60, v42, v10
	v_mul_f32_e32 v10, 0x3eb8f4ab, v2
	v_fma_f32 v9, 0x3f6eb680, v58, -v10
	v_fmamk_f32 v6, v58, 0x3f6eb680, v10
	v_fma_f32 v10, 0xbf59a7d5, v56, -v13
	s_delay_alu instid0(VALU_DEP_3) | instskip(SKIP_1) | instid1(VALU_DEP_3)
	v_dual_fmac_f32 v13, 0xbf59a7d5, v56 :: v_dual_add_f32 v8, v9, v17
	v_mul_f32_e32 v17, 0x3f2c7751, v2
	v_add_f32_e32 v9, v10, v18
	s_delay_alu instid0(VALU_DEP_3) | instskip(SKIP_3) | instid1(VALU_DEP_2)
	v_add_f32_e32 v11, v13, v11
	v_add_f32_e32 v6, v6, v15
	v_mul_f32_e32 v15, 0x3f2c7751, v59
	v_mul_f32_e32 v18, 0xbf4c4adb, v2
	v_fma_f32 v14, 0x3f3d2fb0, v56, -v15
	s_delay_alu instid0(VALU_DEP_1) | instskip(SKIP_4) | instid1(VALU_DEP_4)
	v_add_f32_e32 v13, v14, v23
	v_fmamk_f32 v14, v58, 0x3f3d2fb0, v17
	v_fmac_f32_e32 v15, 0x3f3d2fb0, v56
	v_fma_f32 v17, 0x3f3d2fb0, v58, -v17
	v_mul_f32_e32 v23, 0x3f65296c, v2
	v_add_f32_e32 v14, v14, v22
	s_delay_alu instid0(VALU_DEP_4) | instskip(SKIP_2) | instid1(VALU_DEP_3)
	v_dual_mul_f32 v12, 0xbf06c442, v2 :: v_dual_add_f32 v19, v15, v21
	v_fmamk_f32 v15, v58, 0xbf1a4643, v18
	v_fma_f32 v18, 0xbf1a4643, v58, -v18
	v_fmamk_f32 v10, v58, 0xbf59a7d5, v12
	v_fma_f32 v12, 0xbf59a7d5, v58, -v12
	s_delay_alu instid0(VALU_DEP_2) | instskip(NEXT) | instid1(VALU_DEP_2)
	v_add_f32_e32 v10, v10, v20
	v_add_f32_e32 v12, v12, v16
	v_mul_f32_e32 v16, 0xbf4c4adb, v59
	v_dual_add_f32 v20, v17, v41 :: v_dual_mul_f32 v17, 0x3f65296c, v59
	v_add_f32_e32 v41, v18, v44
	v_fma_f32 v18, 0x3ee437d1, v58, -v23
	s_delay_alu instid0(VALU_DEP_4) | instskip(NEXT) | instid1(VALU_DEP_1)
	v_fma_f32 v22, 0xbf1a4643, v56, -v16
	v_dual_fmac_f32 v16, 0xbf1a4643, v56 :: v_dual_add_f32 v21, v22, v47
	v_add_f32_e32 v22, v15, v49
	v_fma_f32 v15, 0x3ee437d1, v56, -v17
	v_fmac_f32_e32 v17, 0x3ee437d1, v56
	v_mul_f32_e32 v47, 0xbf763a35, v2
	v_mul_f32_e32 v2, 0x3f7ee86f, v2
	s_delay_alu instid0(VALU_DEP_4) | instskip(SKIP_3) | instid1(VALU_DEP_3)
	v_dual_add_f32 v42, v15, v45 :: v_dual_add_f32 v45, v18, v55
	v_dual_add_f32 v40, v16, v40 :: v_dual_fmamk_f32 v15, v58, 0x3ee437d1, v23
	v_dual_add_f32 v44, v17, v48 :: v_dual_mul_f32 v17, 0x3f7ee86f, v59
	v_fma_f32 v18, 0xbe8c1d8e, v58, -v47
	v_dual_mul_f32 v16, 0xbf763a35, v59 :: v_dual_add_f32 v43, v15, v46
	v_fmamk_f32 v15, v58, 0xbe8c1d8e, v47
	s_delay_alu instid0(VALU_DEP_3) | instskip(NEXT) | instid1(VALU_DEP_3)
	v_add_f32_e32 v49, v18, v52
	v_fma_f32 v23, 0xbe8c1d8e, v56, -v16
	v_fmamk_f32 v18, v58, 0x3dbcf732, v2
	v_fma_f32 v2, 0x3dbcf732, v58, -v2
	v_dual_fmac_f32 v16, 0xbe8c1d8e, v56 :: v_dual_add_f32 v47, v15, v53
	s_delay_alu instid0(VALU_DEP_4)
	v_add_f32_e32 v46, v23, v51
	v_fma_f32 v15, 0x3dbcf732, v56, -v17
	v_fmac_f32_e32 v17, 0x3dbcf732, v56
	v_add_f32_e32 v53, v2, v66
	v_add_f32_e32 v48, v16, v50
	v_subrev_nc_u32_e32 v16, 17, v24
	v_add_f32_e32 v50, v15, v54
	v_add_f32_e32 v52, v17, v65
	v_mad_u32_u24 v15, 0x88, v24, v63
	ds_store_2addr_b64 v15, v[38:39], v[0:1] offset1:1
	ds_store_2addr_b64 v15, v[5:6], v[9:10] offset0:2 offset1:3
	ds_store_2addr_b64 v15, v[13:14], v[21:22] offset0:4 offset1:5
	;; [unrolled: 1-line block ×3, first 2 shown]
	v_cndmask_b32_e64 v2, v16, v24, s0
	v_lshl_add_u32 v66, v30, 3, v63
	v_lshl_add_u32 v65, v29, 3, v63
	;; [unrolled: 1-line block ×3, first 2 shown]
	s_delay_alu instid0(VALU_DEP_4)
	v_lshlrev_b32_e32 v17, 4, v2
	v_dual_add_f32 v51, v18, v60 :: v_dual_mov_b32 v18, 0
	ds_store_2addr_b64 v15, v[50:51], v[52:53] offset0:8 offset1:9
	ds_store_2addr_b64 v15, v[48:49], v[44:45] offset0:10 offset1:11
	;; [unrolled: 1-line block ×4, first 2 shown]
	v_lshlrev_b64 v[0:1], 3, v[17:18]
	ds_store_b64 v15, v[3:4] offset:128
	s_waitcnt lgkmcnt(0)
	s_barrier
	buffer_gl0_inv
	v_lshlrev_b32_e32 v2, 3, v2
	v_add_co_u32 v0, s1, s4, v0
	s_delay_alu instid0(VALU_DEP_1)
	v_add_co_ci_u32_e64 v1, s1, s5, v1, s1
	s_clause 0x7
	global_load_b128 v[3:6], v[0:1], off
	global_load_b128 v[7:10], v[0:1], off offset:16
	global_load_b128 v[19:22], v[0:1], off offset:32
	;; [unrolled: 1-line block ×7, first 2 shown]
	ds_load_b64 v[0:1], v71
	ds_load_b64 v[11:12], v70
	;; [unrolled: 1-line block ×8, first 2 shown]
	ds_load_2addr_b64 v[72:75], v36 offset0:50 offset1:84
	ds_load_2addr_b64 v[76:79], v36 offset0:118 offset1:152
	v_cmp_lt_u32_e64 s1, 16, v24
	s_waitcnt vmcnt(7) lgkmcnt(9)
	v_mul_f32_e32 v15, v4, v1
	s_waitcnt vmcnt(6) lgkmcnt(7)
	v_mul_f32_e32 v91, v13, v8
	v_mul_f32_e32 v60, v4, v0
	;; [unrolled: 1-line block ×4, first 2 shown]
	v_fma_f32 v89, v3, v0, -v15
	s_delay_alu instid0(VALU_DEP_4)
	v_dual_fmac_f32 v91, v14, v7 :: v_dual_fmac_f32 v60, v3, v1
	s_waitcnt vmcnt(5) lgkmcnt(4)
	v_mul_f32_e32 v15, v82, v20
	v_mul_f32_e32 v3, v14, v8
	v_fma_f32 v90, v5, v11, -v4
	s_waitcnt lgkmcnt(3)
	v_mul_f32_e32 v11, v84, v22
	v_mul_f32_e32 v4, v59, v10
	;; [unrolled: 1-line block ×3, first 2 shown]
	v_fma_f32 v93, v13, v7, -v3
	v_mul_f32_e32 v3, v83, v20
	v_fmac_f32_e32 v11, v85, v21
	v_fma_f32 v58, v58, v9, -v4
	v_mul_f32_e32 v4, v85, v22
	v_dual_fmac_f32 v88, v5, v12 :: v_dual_fmac_f32 v15, v83, v19
	v_fma_f32 v17, v82, v19, -v3
	s_waitcnt vmcnt(4) lgkmcnt(1)
	v_mul_f32_e32 v3, v73, v39
	s_waitcnt vmcnt(3)
	v_mul_f32_e32 v5, v87, v43
	v_fma_f32 v12, v84, v21, -v4
	v_add_f32_e32 v6, v89, v80
	ds_load_b64 v[0:1], v23
	v_fma_f32 v4, v72, v38, -v3
	v_mul_f32_e32 v3, v72, v39
	v_add_f32_e32 v8, v60, v81
	v_dual_fmac_f32 v92, v59, v9 :: v_dual_mul_f32 v7, v86, v43
	v_dual_add_f32 v6, v6, v90 :: v_dual_mul_f32 v9, v75, v41
	s_delay_alu instid0(VALU_DEP_3) | instskip(NEXT) | instid1(VALU_DEP_3)
	v_dual_fmac_f32 v3, v73, v38 :: v_dual_add_f32 v10, v8, v88
	v_fmac_f32_e32 v7, v87, v42
	ds_load_2addr_b64 v[19:22], v36 offset0:186 offset1:220
	v_fma_f32 v9, v74, v40, -v9
	s_waitcnt vmcnt(2) lgkmcnt(2)
	v_mul_f32_e32 v43, v78, v49
	v_add_f32_e32 v13, v10, v91
	v_mul_f32_e32 v8, v74, v41
	v_fma_f32 v10, v86, v42, -v5
	s_delay_alu instid0(VALU_DEP_4) | instskip(NEXT) | instid1(VALU_DEP_4)
	v_fmac_f32_e32 v43, v79, v48
	v_dual_add_f32 v13, v13, v92 :: v_dual_add_f32 v6, v6, v93
	s_waitcnt lgkmcnt(1)
	v_mul_f32_e32 v14, v1, v45
	v_dual_mul_f32 v5, v0, v45 :: v_dual_fmac_f32 v8, v75, v40
	s_delay_alu instid0(VALU_DEP_3)
	v_dual_add_f32 v13, v13, v15 :: v_dual_add_f32 v6, v6, v58
	ds_load_2addr_b64 v[38:41], v25 offset0:126 offset1:160
	v_fmac_f32_e32 v5, v1, v44
	s_waitcnt vmcnt(0) lgkmcnt(0)
	v_dual_add_f32 v1, v13, v11 :: v_dual_add_f32 v42, v6, v17
	v_mul_f32_e32 v13, v76, v47
	v_fma_f32 v6, v0, v44, -v14
	v_mul_f32_e32 v14, v77, v47
	s_delay_alu instid0(VALU_DEP_4) | instskip(SKIP_2) | instid1(VALU_DEP_3)
	v_dual_add_f32 v1, v1, v7 :: v_dual_add_f32 v0, v42, v12
	v_mul_f32_e32 v45, v19, v51
	v_dual_mul_f32 v42, v79, v49 :: v_dual_fmac_f32 v13, v77, v46
	v_dual_add_f32 v1, v1, v5 :: v_dual_add_f32 v0, v0, v10
	v_fma_f32 v14, v76, v46, -v14
	v_mul_f32_e32 v44, v20, v51
	s_delay_alu instid0(VALU_DEP_4) | instskip(SKIP_2) | instid1(VALU_DEP_4)
	v_fma_f32 v42, v78, v48, -v42
	v_dual_fmac_f32 v45, v20, v50 :: v_dual_mul_f32 v20, v22, v53
	v_add_f32_e32 v0, v0, v6
	v_fma_f32 v19, v19, v50, -v44
	v_mul_f32_e32 v44, v21, v53
	s_barrier
	v_fma_f32 v20, v21, v52, -v20
	v_dual_add_f32 v0, v0, v4 :: v_dual_add_f32 v1, v1, v3
	buffer_gl0_inv
	v_dual_add_f32 v0, v0, v9 :: v_dual_add_f32 v1, v1, v8
	s_delay_alu instid0(VALU_DEP_1) | instskip(NEXT) | instid1(VALU_DEP_2)
	v_add_f32_e32 v0, v0, v14
	v_dual_mul_f32 v46, v39, v55 :: v_dual_add_f32 v1, v1, v13
	v_fmac_f32_e32 v44, v22, v52
	s_delay_alu instid0(VALU_DEP_2) | instskip(NEXT) | instid1(VALU_DEP_3)
	v_fma_f32 v21, v38, v54, -v46
	v_dual_add_f32 v1, v1, v43 :: v_dual_add_f32 v0, v0, v42
	v_mul_f32_e32 v46, v41, v57
	s_delay_alu instid0(VALU_DEP_2) | instskip(NEXT) | instid1(VALU_DEP_1)
	v_dual_add_f32 v1, v1, v45 :: v_dual_mul_f32 v22, v38, v55
	v_dual_add_f32 v1, v1, v44 :: v_dual_fmac_f32 v22, v39, v54
	s_delay_alu instid0(VALU_DEP_3) | instskip(SKIP_1) | instid1(VALU_DEP_2)
	v_fma_f32 v39, v40, v56, -v46
	v_mul_f32_e32 v38, v40, v57
	v_add_f32_e32 v46, v89, v39
	s_delay_alu instid0(VALU_DEP_2) | instskip(NEXT) | instid1(VALU_DEP_1)
	v_fmac_f32_e32 v38, v41, v56
	v_dual_sub_f32 v41, v89, v39 :: v_dual_sub_f32 v40, v60, v38
	s_delay_alu instid0(VALU_DEP_1)
	v_dual_mul_f32 v53, 0xbf2c7751, v41 :: v_dual_add_f32 v48, v60, v38
	v_mul_f32_e32 v85, 0xbf06c442, v41
	v_dual_mul_f32 v49, 0xbeb8f4ab, v41 :: v_dual_add_f32 v0, v0, v19
	v_add_f32_e32 v1, v1, v22
	v_mul_f32_e32 v47, 0xbeb8f4ab, v40
	v_mul_f32_e32 v59, 0xbf4c4adb, v40
	;; [unrolled: 1-line block ×3, first 2 shown]
	s_delay_alu instid0(VALU_DEP_4) | instskip(NEXT) | instid1(VALU_DEP_4)
	v_dual_add_f32 v0, v0, v20 :: v_dual_add_f32 v1, v1, v38
	v_fma_f32 v38, 0x3f6eb680, v46, -v47
	v_fmac_f32_e32 v47, 0x3f6eb680, v46
	v_fmamk_f32 v50, v48, 0x3f6eb680, v49
	v_fma_f32 v49, 0x3f6eb680, v48, -v49
	v_mul_f32_e32 v54, 0xbf7ee86f, v40
	v_add_f32_e32 v0, v0, v21
	v_fma_f32 v73, 0xbf1a4643, v46, -v59
	v_mul_f32_e32 v78, 0xbf7ee86f, v41
	v_add_f32_e32 v49, v49, v81
	v_fma_f32 v57, 0x3dbcf732, v46, -v54
	v_mul_f32_e32 v76, 0xbf65296c, v41
	v_dual_add_f32 v0, v0, v39 :: v_dual_mul_f32 v39, 0xbf2c7751, v40
	v_dual_mul_f32 v84, 0xbf4c4adb, v41 :: v_dual_add_f32 v47, v47, v80
	s_delay_alu instid0(VALU_DEP_4) | instskip(NEXT) | instid1(VALU_DEP_4)
	v_add_f32_e32 v57, v57, v80
	v_fmamk_f32 v77, v48, 0x3ee437d1, v76
	v_mul_f32_e32 v56, 0xbf763a35, v40
	v_add_f32_e32 v73, v73, v80
	v_fmamk_f32 v79, v48, 0x3dbcf732, v78
	v_mul_f32_e32 v72, 0xbf06c442, v40
	v_mul_f32_e32 v40, 0xbe3c28d5, v40
	v_dual_fmac_f32 v59, 0xbf1a4643, v46 :: v_dual_fmamk_f32 v86, v48, 0xbf1a4643, v84
	v_mul_f32_e32 v82, 0xbf763a35, v41
	v_mul_f32_e32 v41, 0xbe3c28d5, v41
	s_delay_alu instid0(VALU_DEP_4) | instskip(NEXT) | instid1(VALU_DEP_4)
	v_fma_f32 v75, 0xbf7ba420, v46, -v40
	v_add_f32_e32 v59, v59, v80
	v_fma_f32 v52, 0x3f3d2fb0, v46, -v39
	v_fmac_f32_e32 v39, 0x3f3d2fb0, v46
	v_fma_f32 v55, 0x3ee437d1, v46, -v51
	v_dual_fmac_f32 v51, 0x3ee437d1, v46 :: v_dual_add_f32 v38, v38, v80
	s_delay_alu instid0(VALU_DEP_3)
	v_dual_fmac_f32 v54, 0x3dbcf732, v46 :: v_dual_add_f32 v39, v39, v80
	v_fma_f32 v60, 0xbe8c1d8e, v46, -v56
	v_fmac_f32_e32 v56, 0xbe8c1d8e, v46
	v_fma_f32 v74, 0xbf59a7d5, v46, -v72
	v_dual_fmac_f32 v72, 0xbf59a7d5, v46 :: v_dual_fmamk_f32 v87, v48, 0xbf59a7d5, v85
	v_dual_fmac_f32 v40, 0xbf7ba420, v46 :: v_dual_fmamk_f32 v89, v48, 0xbf7ba420, v41
	v_dual_fmamk_f32 v46, v48, 0x3f3d2fb0, v53 :: v_dual_add_f32 v51, v51, v80
	v_fma_f32 v53, 0x3f3d2fb0, v48, -v53
	v_fma_f32 v76, 0x3ee437d1, v48, -v76
	;; [unrolled: 1-line block ×3, first 2 shown]
	v_fmamk_f32 v83, v48, 0xbe8c1d8e, v82
	v_fma_f32 v82, 0xbe8c1d8e, v48, -v82
	v_fma_f32 v85, 0xbf59a7d5, v48, -v85
	;; [unrolled: 1-line block ×3, first 2 shown]
	v_add_f32_e32 v75, v75, v80
	v_fma_f32 v84, 0xbf1a4643, v48, -v84
	v_add_f32_e32 v48, v50, v81
	v_add_f32_e32 v50, v52, v80
	;; [unrolled: 1-line block ×3, first 2 shown]
	v_dual_add_f32 v52, v53, v81 :: v_dual_add_f32 v53, v55, v80
	v_add_f32_e32 v55, v77, v81
	v_add_f32_e32 v76, v76, v81
	v_dual_add_f32 v77, v79, v81 :: v_dual_add_f32 v54, v54, v80
	v_add_f32_e32 v85, v85, v81
	v_add_f32_e32 v78, v78, v81
	v_dual_add_f32 v60, v60, v80 :: v_dual_add_f32 v79, v83, v81
	v_dual_add_f32 v83, v86, v81 :: v_dual_add_f32 v56, v56, v80
	v_add_f32_e32 v82, v82, v81
	v_add_f32_e32 v84, v84, v81
	v_dual_add_f32 v74, v74, v80 :: v_dual_add_f32 v41, v41, v81
	v_add_f32_e32 v86, v87, v81
	v_dual_add_f32 v72, v72, v80 :: v_dual_add_f32 v87, v89, v81
	v_dual_add_f32 v81, v90, v21 :: v_dual_add_f32 v40, v40, v80
	v_dual_sub_f32 v21, v90, v21 :: v_dual_sub_f32 v80, v88, v22
	v_add_f32_e32 v22, v88, v22
	s_delay_alu instid0(VALU_DEP_2) | instskip(NEXT) | instid1(VALU_DEP_1)
	v_mul_f32_e32 v88, 0xbf2c7751, v80
	v_fma_f32 v89, 0x3f3d2fb0, v81, -v88
	v_fmac_f32_e32 v88, 0x3f3d2fb0, v81
	s_delay_alu instid0(VALU_DEP_2) | instskip(NEXT) | instid1(VALU_DEP_2)
	v_dual_add_f32 v38, v89, v38 :: v_dual_mul_f32 v89, 0xbf2c7751, v21
	v_add_f32_e32 v47, v88, v47
	s_delay_alu instid0(VALU_DEP_2) | instskip(NEXT) | instid1(VALU_DEP_1)
	v_fma_f32 v88, 0x3f3d2fb0, v22, -v89
	v_dual_fmamk_f32 v90, v22, 0x3f3d2fb0, v89 :: v_dual_add_f32 v49, v88, v49
	v_mul_f32_e32 v88, 0xbf7ee86f, v80
	s_delay_alu instid0(VALU_DEP_2) | instskip(NEXT) | instid1(VALU_DEP_2)
	v_add_f32_e32 v48, v90, v48
	v_fma_f32 v89, 0x3dbcf732, v81, -v88
	v_fmac_f32_e32 v88, 0x3dbcf732, v81
	s_delay_alu instid0(VALU_DEP_2) | instskip(NEXT) | instid1(VALU_DEP_2)
	v_dual_add_f32 v50, v89, v50 :: v_dual_mul_f32 v89, 0xbf7ee86f, v21
	v_add_f32_e32 v39, v88, v39
	s_delay_alu instid0(VALU_DEP_2) | instskip(SKIP_1) | instid1(VALU_DEP_2)
	v_fma_f32 v88, 0x3dbcf732, v22, -v89
	v_fmamk_f32 v90, v22, 0x3dbcf732, v89
	v_add_f32_e32 v52, v88, v52
	v_mul_f32_e32 v88, 0xbf4c4adb, v80
	s_delay_alu instid0(VALU_DEP_3) | instskip(NEXT) | instid1(VALU_DEP_2)
	v_add_f32_e32 v46, v90, v46
	v_fma_f32 v89, 0xbf1a4643, v81, -v88
	v_fmac_f32_e32 v88, 0xbf1a4643, v81
	s_delay_alu instid0(VALU_DEP_2) | instskip(SKIP_1) | instid1(VALU_DEP_1)
	v_add_f32_e32 v53, v89, v53
	v_mul_f32_e32 v89, 0xbf4c4adb, v21
	v_dual_add_f32 v51, v88, v51 :: v_dual_fmamk_f32 v90, v22, 0xbf1a4643, v89
	v_fma_f32 v88, 0xbf1a4643, v22, -v89
	s_delay_alu instid0(VALU_DEP_1) | instskip(SKIP_1) | instid1(VALU_DEP_1)
	v_dual_add_f32 v55, v90, v55 :: v_dual_add_f32 v76, v88, v76
	v_mul_f32_e32 v88, 0xbe3c28d5, v80
	v_fma_f32 v89, 0xbf7ba420, v81, -v88
	v_fmac_f32_e32 v88, 0xbf7ba420, v81
	s_delay_alu instid0(VALU_DEP_2) | instskip(NEXT) | instid1(VALU_DEP_2)
	v_add_f32_e32 v57, v89, v57
	v_dual_mul_f32 v89, 0xbe3c28d5, v21 :: v_dual_add_f32 v54, v88, v54
	s_delay_alu instid0(VALU_DEP_1) | instskip(SKIP_1) | instid1(VALU_DEP_2)
	v_fma_f32 v88, 0xbf7ba420, v22, -v89
	v_fmamk_f32 v90, v22, 0xbf7ba420, v89
	v_add_f32_e32 v78, v88, v78
	s_delay_alu instid0(VALU_DEP_2) | instskip(NEXT) | instid1(VALU_DEP_1)
	v_dual_mul_f32 v88, 0x3f06c442, v80 :: v_dual_add_f32 v77, v90, v77
	v_fma_f32 v89, 0xbf59a7d5, v81, -v88
	v_fmac_f32_e32 v88, 0xbf59a7d5, v81
	s_delay_alu instid0(VALU_DEP_2) | instskip(NEXT) | instid1(VALU_DEP_2)
	v_dual_add_f32 v60, v89, v60 :: v_dual_mul_f32 v89, 0x3f06c442, v21
	v_add_f32_e32 v56, v88, v56
	s_delay_alu instid0(VALU_DEP_2) | instskip(SKIP_1) | instid1(VALU_DEP_2)
	v_fma_f32 v88, 0xbf59a7d5, v22, -v89
	v_fmamk_f32 v90, v22, 0xbf59a7d5, v89
	v_add_f32_e32 v82, v88, v82
	s_delay_alu instid0(VALU_DEP_2) | instskip(NEXT) | instid1(VALU_DEP_1)
	v_dual_mul_f32 v88, 0x3f763a35, v80 :: v_dual_add_f32 v79, v90, v79
	v_fma_f32 v89, 0xbe8c1d8e, v81, -v88
	v_fmac_f32_e32 v88, 0xbe8c1d8e, v81
	s_delay_alu instid0(VALU_DEP_2) | instskip(SKIP_1) | instid1(VALU_DEP_3)
	v_add_f32_e32 v73, v89, v73
	v_mul_f32_e32 v89, 0x3f763a35, v21
	v_add_f32_e32 v59, v88, v59
	s_delay_alu instid0(VALU_DEP_2) | instskip(SKIP_1) | instid1(VALU_DEP_2)
	v_fma_f32 v88, 0xbe8c1d8e, v22, -v89
	v_fmamk_f32 v90, v22, 0xbe8c1d8e, v89
	v_add_f32_e32 v84, v88, v84
	v_mul_f32_e32 v88, 0x3f65296c, v80
	s_delay_alu instid0(VALU_DEP_3) | instskip(NEXT) | instid1(VALU_DEP_2)
	v_dual_mul_f32 v80, 0x3eb8f4ab, v80 :: v_dual_add_f32 v83, v90, v83
	v_fma_f32 v89, 0x3ee437d1, v81, -v88
	v_fmac_f32_e32 v88, 0x3ee437d1, v81
	s_delay_alu instid0(VALU_DEP_1) | instskip(NEXT) | instid1(VALU_DEP_4)
	v_add_f32_e32 v72, v88, v72
	v_fma_f32 v88, 0x3f6eb680, v81, -v80
	s_delay_alu instid0(VALU_DEP_1) | instskip(NEXT) | instid1(VALU_DEP_1)
	v_dual_fmac_f32 v80, 0x3f6eb680, v81 :: v_dual_add_f32 v75, v88, v75
	v_add_f32_e32 v40, v80, v40
	v_add_f32_e32 v80, v93, v20
	v_dual_add_f32 v74, v89, v74 :: v_dual_mul_f32 v89, 0x3f65296c, v21
	v_dual_mul_f32 v21, 0x3eb8f4ab, v21 :: v_dual_sub_f32 v20, v93, v20
	s_delay_alu instid0(VALU_DEP_2) | instskip(SKIP_1) | instid1(VALU_DEP_3)
	v_fmamk_f32 v90, v22, 0x3ee437d1, v89
	v_fma_f32 v81, 0x3ee437d1, v22, -v89
	v_fmamk_f32 v89, v22, 0x3f6eb680, v21
	v_fma_f32 v21, 0x3f6eb680, v22, -v21
	s_delay_alu instid0(VALU_DEP_3) | instskip(NEXT) | instid1(VALU_DEP_3)
	v_add_f32_e32 v22, v81, v85
	v_add_f32_e32 v81, v89, v87
	s_delay_alu instid0(VALU_DEP_3) | instskip(SKIP_1) | instid1(VALU_DEP_1)
	v_add_f32_e32 v21, v21, v41
	v_sub_f32_e32 v41, v91, v44
	v_dual_add_f32 v44, v91, v44 :: v_dual_mul_f32 v85, 0xbf65296c, v41
	s_delay_alu instid0(VALU_DEP_1) | instskip(NEXT) | instid1(VALU_DEP_1)
	v_fma_f32 v87, 0x3ee437d1, v80, -v85
	v_dual_fmac_f32 v85, 0x3ee437d1, v80 :: v_dual_add_f32 v38, v87, v38
	v_mul_f32_e32 v87, 0xbf65296c, v20
	s_delay_alu instid0(VALU_DEP_2) | instskip(NEXT) | instid1(VALU_DEP_2)
	v_add_f32_e32 v47, v85, v47
	v_fma_f32 v85, 0x3ee437d1, v44, -v87
	s_delay_alu instid0(VALU_DEP_1) | instskip(NEXT) | instid1(VALU_DEP_1)
	v_dual_fmamk_f32 v88, v44, 0x3ee437d1, v87 :: v_dual_add_f32 v49, v85, v49
	v_dual_mul_f32 v85, 0xbf4c4adb, v41 :: v_dual_add_f32 v48, v88, v48
	s_delay_alu instid0(VALU_DEP_1) | instskip(NEXT) | instid1(VALU_DEP_1)
	v_fma_f32 v87, 0xbf1a4643, v80, -v85
	v_dual_fmac_f32 v85, 0xbf1a4643, v80 :: v_dual_add_f32 v50, v87, v50
	v_mul_f32_e32 v87, 0xbf4c4adb, v20
	s_delay_alu instid0(VALU_DEP_2) | instskip(NEXT) | instid1(VALU_DEP_2)
	v_add_f32_e32 v39, v85, v39
	v_fma_f32 v85, 0xbf1a4643, v44, -v87
	v_fmamk_f32 v88, v44, 0xbf1a4643, v87
	s_delay_alu instid0(VALU_DEP_2) | instskip(NEXT) | instid1(VALU_DEP_2)
	v_dual_add_f32 v52, v85, v52 :: v_dual_mul_f32 v85, 0x3e3c28d5, v41
	v_add_f32_e32 v46, v88, v46
	s_delay_alu instid0(VALU_DEP_2) | instskip(SKIP_1) | instid1(VALU_DEP_2)
	v_fma_f32 v87, 0xbf7ba420, v80, -v85
	v_fmac_f32_e32 v85, 0xbf7ba420, v80
	v_add_f32_e32 v53, v87, v53
	v_mul_f32_e32 v87, 0x3e3c28d5, v20
	s_delay_alu instid0(VALU_DEP_3) | instskip(NEXT) | instid1(VALU_DEP_2)
	v_add_f32_e32 v51, v85, v51
	v_fma_f32 v85, 0xbf7ba420, v44, -v87
	v_fmamk_f32 v88, v44, 0xbf7ba420, v87
	s_delay_alu instid0(VALU_DEP_2) | instskip(NEXT) | instid1(VALU_DEP_2)
	v_dual_add_f32 v76, v85, v76 :: v_dual_mul_f32 v85, 0x3f763a35, v41
	v_add_f32_e32 v55, v88, v55
	s_delay_alu instid0(VALU_DEP_2) | instskip(SKIP_1) | instid1(VALU_DEP_2)
	v_fma_f32 v87, 0xbe8c1d8e, v80, -v85
	v_fmac_f32_e32 v85, 0xbe8c1d8e, v80
	v_add_f32_e32 v57, v87, v57
	s_delay_alu instid0(VALU_DEP_2) | instskip(NEXT) | instid1(VALU_DEP_1)
	v_dual_mul_f32 v87, 0x3f763a35, v20 :: v_dual_add_f32 v54, v85, v54
	v_fmamk_f32 v88, v44, 0xbe8c1d8e, v87
	v_fma_f32 v85, 0xbe8c1d8e, v44, -v87
	s_delay_alu instid0(VALU_DEP_2) | instskip(NEXT) | instid1(VALU_DEP_2)
	v_dual_add_f32 v77, v88, v77 :: v_dual_add_f32 v86, v90, v86
	v_dual_add_f32 v78, v85, v78 :: v_dual_mul_f32 v85, 0x3f2c7751, v41
	s_delay_alu instid0(VALU_DEP_1) | instskip(SKIP_1) | instid1(VALU_DEP_2)
	v_fma_f32 v87, 0x3f3d2fb0, v80, -v85
	v_fmac_f32_e32 v85, 0x3f3d2fb0, v80
	v_add_f32_e32 v60, v87, v60
	v_mul_f32_e32 v87, 0x3f2c7751, v20
	s_delay_alu instid0(VALU_DEP_3) | instskip(NEXT) | instid1(VALU_DEP_2)
	v_add_f32_e32 v56, v85, v56
	v_fma_f32 v85, 0x3f3d2fb0, v44, -v87
	v_fmamk_f32 v88, v44, 0x3f3d2fb0, v87
	s_delay_alu instid0(VALU_DEP_2) | instskip(NEXT) | instid1(VALU_DEP_2)
	v_dual_add_f32 v82, v85, v82 :: v_dual_mul_f32 v85, 0xbeb8f4ab, v41
	v_add_f32_e32 v79, v88, v79
	s_delay_alu instid0(VALU_DEP_2) | instskip(SKIP_1) | instid1(VALU_DEP_2)
	v_fma_f32 v87, 0x3f6eb680, v80, -v85
	v_fmac_f32_e32 v85, 0x3f6eb680, v80
	v_add_f32_e32 v73, v87, v73
	v_mul_f32_e32 v87, 0xbeb8f4ab, v20
	s_delay_alu instid0(VALU_DEP_3) | instskip(NEXT) | instid1(VALU_DEP_2)
	v_add_f32_e32 v59, v85, v59
	v_fma_f32 v85, 0x3f6eb680, v44, -v87
	s_delay_alu instid0(VALU_DEP_1) | instskip(SKIP_2) | instid1(VALU_DEP_3)
	v_dual_add_f32 v84, v85, v84 :: v_dual_mul_f32 v85, 0xbf7ee86f, v41
	v_fmamk_f32 v88, v44, 0x3f6eb680, v87
	v_mul_f32_e32 v41, 0xbf06c442, v41
	v_fma_f32 v87, 0x3dbcf732, v80, -v85
	v_fmac_f32_e32 v85, 0x3dbcf732, v80
	s_delay_alu instid0(VALU_DEP_2) | instskip(SKIP_1) | instid1(VALU_DEP_3)
	v_dual_add_f32 v83, v88, v83 :: v_dual_add_f32 v74, v87, v74
	v_mul_f32_e32 v87, 0xbf7ee86f, v20
	v_add_f32_e32 v72, v85, v72
	v_fma_f32 v85, 0xbf59a7d5, v80, -v41
	v_fmac_f32_e32 v41, 0xbf59a7d5, v80
	v_mul_f32_e32 v20, 0xbf06c442, v20
	v_fma_f32 v80, 0x3dbcf732, v44, -v87
	s_delay_alu instid0(VALU_DEP_3) | instskip(NEXT) | instid1(VALU_DEP_2)
	v_dual_add_f32 v40, v41, v40 :: v_dual_add_f32 v41, v92, v45
	v_add_f32_e32 v22, v80, v22
	v_fmamk_f32 v88, v44, 0x3dbcf732, v87
	v_fmamk_f32 v87, v44, 0xbf59a7d5, v20
	v_fma_f32 v20, 0xbf59a7d5, v44, -v20
	s_delay_alu instid0(VALU_DEP_2) | instskip(NEXT) | instid1(VALU_DEP_2)
	v_dual_add_f32 v44, v85, v75 :: v_dual_add_f32 v75, v87, v81
	v_add_f32_e32 v20, v20, v21
	v_sub_f32_e32 v21, v92, v45
	v_add_f32_e32 v45, v58, v19
	s_delay_alu instid0(VALU_DEP_2) | instskip(NEXT) | instid1(VALU_DEP_1)
	v_dual_sub_f32 v19, v58, v19 :: v_dual_mul_f32 v58, 0xbf7ee86f, v21
	v_fma_f32 v80, 0x3dbcf732, v45, -v58
	v_fmac_f32_e32 v58, 0x3dbcf732, v45
	s_delay_alu instid0(VALU_DEP_2) | instskip(NEXT) | instid1(VALU_DEP_4)
	v_add_f32_e32 v38, v80, v38
	v_mul_f32_e32 v80, 0xbf7ee86f, v19
	s_delay_alu instid0(VALU_DEP_3) | instskip(NEXT) | instid1(VALU_DEP_2)
	v_add_f32_e32 v47, v58, v47
	v_fma_f32 v58, 0x3dbcf732, v41, -v80
	v_dual_fmamk_f32 v81, v41, 0x3dbcf732, v80 :: v_dual_add_f32 v86, v88, v86
	s_delay_alu instid0(VALU_DEP_2) | instskip(SKIP_1) | instid1(VALU_DEP_3)
	v_add_f32_e32 v49, v58, v49
	v_mul_f32_e32 v58, 0xbe3c28d5, v21
	v_add_f32_e32 v48, v81, v48
	s_delay_alu instid0(VALU_DEP_2) | instskip(SKIP_1) | instid1(VALU_DEP_2)
	v_fma_f32 v80, 0xbf7ba420, v45, -v58
	v_fmac_f32_e32 v58, 0xbf7ba420, v45
	v_add_f32_e32 v50, v80, v50
	v_mul_f32_e32 v80, 0xbe3c28d5, v19
	s_delay_alu instid0(VALU_DEP_3) | instskip(NEXT) | instid1(VALU_DEP_2)
	v_add_f32_e32 v39, v58, v39
	v_fma_f32 v58, 0xbf7ba420, v41, -v80
	s_delay_alu instid0(VALU_DEP_1) | instskip(SKIP_1) | instid1(VALU_DEP_2)
	v_dual_fmamk_f32 v81, v41, 0xbf7ba420, v80 :: v_dual_add_f32 v52, v58, v52
	v_mul_f32_e32 v58, 0x3f763a35, v21
	v_add_f32_e32 v46, v81, v46
	s_delay_alu instid0(VALU_DEP_2) | instskip(SKIP_1) | instid1(VALU_DEP_2)
	v_fma_f32 v80, 0xbe8c1d8e, v45, -v58
	v_fmac_f32_e32 v58, 0xbe8c1d8e, v45
	v_dual_add_f32 v53, v80, v53 :: v_dual_mul_f32 v80, 0x3f763a35, v19
	s_delay_alu instid0(VALU_DEP_2) | instskip(NEXT) | instid1(VALU_DEP_2)
	v_add_f32_e32 v51, v58, v51
	v_fma_f32 v58, 0xbe8c1d8e, v41, -v80
	s_delay_alu instid0(VALU_DEP_1) | instskip(NEXT) | instid1(VALU_DEP_1)
	v_dual_fmamk_f32 v81, v41, 0xbe8c1d8e, v80 :: v_dual_add_f32 v58, v58, v76
	v_dual_mul_f32 v76, 0x3eb8f4ab, v21 :: v_dual_add_f32 v55, v81, v55
	s_delay_alu instid0(VALU_DEP_1) | instskip(SKIP_1) | instid1(VALU_DEP_2)
	v_fma_f32 v80, 0x3f6eb680, v45, -v76
	v_fmac_f32_e32 v76, 0x3f6eb680, v45
	v_dual_add_f32 v57, v80, v57 :: v_dual_mul_f32 v80, 0x3eb8f4ab, v19
	s_delay_alu instid0(VALU_DEP_2) | instskip(NEXT) | instid1(VALU_DEP_2)
	v_add_f32_e32 v54, v76, v54
	v_fma_f32 v76, 0x3f6eb680, v41, -v80
	s_delay_alu instid0(VALU_DEP_1) | instskip(SKIP_1) | instid1(VALU_DEP_2)
	v_dual_fmamk_f32 v81, v41, 0x3f6eb680, v80 :: v_dual_add_f32 v76, v76, v78
	v_mul_f32_e32 v78, 0xbf65296c, v21
	v_add_f32_e32 v77, v81, v77
	s_delay_alu instid0(VALU_DEP_2) | instskip(SKIP_1) | instid1(VALU_DEP_2)
	v_fma_f32 v80, 0x3ee437d1, v45, -v78
	v_fmac_f32_e32 v78, 0x3ee437d1, v45
	v_add_f32_e32 v60, v80, v60
	v_mul_f32_e32 v80, 0xbf65296c, v19
	s_delay_alu instid0(VALU_DEP_1) | instskip(SKIP_1) | instid1(VALU_DEP_2)
	v_dual_add_f32 v56, v78, v56 :: v_dual_fmamk_f32 v81, v41, 0x3ee437d1, v80
	v_fma_f32 v78, 0x3ee437d1, v41, -v80
	v_dual_mul_f32 v80, 0xbf06c442, v21 :: v_dual_add_f32 v79, v81, v79
	s_delay_alu instid0(VALU_DEP_2) | instskip(NEXT) | instid1(VALU_DEP_2)
	v_add_f32_e32 v78, v78, v82
	v_fma_f32 v81, 0xbf59a7d5, v45, -v80
	v_fmac_f32_e32 v80, 0xbf59a7d5, v45
	s_delay_alu instid0(VALU_DEP_2) | instskip(SKIP_1) | instid1(VALU_DEP_1)
	v_add_f32_e32 v73, v81, v73
	v_mul_f32_e32 v81, 0xbf06c442, v19
	v_dual_add_f32 v59, v80, v59 :: v_dual_fmamk_f32 v82, v41, 0xbf59a7d5, v81
	v_fma_f32 v80, 0xbf59a7d5, v41, -v81
	v_mul_f32_e32 v81, 0x3f4c4adb, v21
	s_delay_alu instid0(VALU_DEP_3) | instskip(NEXT) | instid1(VALU_DEP_3)
	v_dual_mul_f32 v21, 0x3f2c7751, v21 :: v_dual_add_f32 v82, v82, v83
	v_add_f32_e32 v80, v80, v84
	s_delay_alu instid0(VALU_DEP_3) | instskip(NEXT) | instid1(VALU_DEP_1)
	v_fma_f32 v83, 0xbf1a4643, v45, -v81
	v_dual_fmac_f32 v81, 0xbf1a4643, v45 :: v_dual_add_f32 v74, v83, v74
	s_delay_alu instid0(VALU_DEP_1) | instskip(SKIP_1) | instid1(VALU_DEP_2)
	v_dual_mul_f32 v83, 0x3f4c4adb, v19 :: v_dual_add_f32 v72, v81, v72
	v_mul_f32_e32 v19, 0x3f2c7751, v19
	v_fma_f32 v81, 0xbf1a4643, v41, -v83
	v_fmamk_f32 v84, v41, 0xbf1a4643, v83
	s_delay_alu instid0(VALU_DEP_2) | instskip(SKIP_4) | instid1(VALU_DEP_4)
	v_add_f32_e32 v22, v81, v22
	v_fma_f32 v81, 0x3f3d2fb0, v45, -v21
	v_fmac_f32_e32 v21, 0x3f3d2fb0, v45
	v_sub_f32_e32 v45, v17, v42
	v_add_f32_e32 v17, v17, v42
	v_add_f32_e32 v44, v81, v44
	v_fmamk_f32 v81, v41, 0x3f3d2fb0, v19
	v_fma_f32 v19, 0x3f3d2fb0, v41, -v19
	v_sub_f32_e32 v41, v15, v43
	v_add_f32_e32 v15, v15, v43
	v_mul_f32_e32 v43, 0xbf763a35, v45
	v_add_f32_e32 v21, v21, v40
	s_delay_alu instid0(VALU_DEP_4) | instskip(NEXT) | instid1(VALU_DEP_3)
	v_dual_add_f32 v19, v19, v20 :: v_dual_mul_f32 v42, 0xbf763a35, v41
	v_dual_add_f32 v75, v81, v75 :: v_dual_fmamk_f32 v40, v15, 0xbe8c1d8e, v43
	s_delay_alu instid0(VALU_DEP_2) | instskip(NEXT) | instid1(VALU_DEP_1)
	v_fma_f32 v20, 0xbe8c1d8e, v17, -v42
	v_add_f32_e32 v20, v20, v38
	s_delay_alu instid0(VALU_DEP_3) | instskip(SKIP_4) | instid1(VALU_DEP_3)
	v_add_f32_e32 v38, v40, v48
	v_fma_f32 v40, 0xbe8c1d8e, v15, -v43
	v_mul_f32_e32 v48, 0x3f06c442, v45
	v_mul_f32_e32 v43, 0x3f06c442, v41
	v_fmac_f32_e32 v42, 0xbe8c1d8e, v17
	v_dual_add_f32 v40, v40, v49 :: v_dual_fmamk_f32 v49, v15, 0xbf59a7d5, v48
	v_fma_f32 v48, 0xbf59a7d5, v15, -v48
	s_delay_alu instid0(VALU_DEP_3) | instskip(SKIP_1) | instid1(VALU_DEP_4)
	v_add_f32_e32 v42, v42, v47
	v_fma_f32 v47, 0xbf59a7d5, v17, -v43
	v_dual_fmac_f32 v43, 0xbf59a7d5, v17 :: v_dual_add_f32 v46, v49, v46
	v_mul_f32_e32 v49, 0x3f2c7751, v41
	s_delay_alu instid0(VALU_DEP_3) | instskip(NEXT) | instid1(VALU_DEP_3)
	v_add_f32_e32 v47, v47, v50
	v_add_f32_e32 v39, v43, v39
	;; [unrolled: 1-line block ×3, first 2 shown]
	s_delay_alu instid0(VALU_DEP_4) | instskip(SKIP_2) | instid1(VALU_DEP_3)
	v_fma_f32 v48, 0x3f3d2fb0, v17, -v49
	v_mul_f32_e32 v50, 0x3f2c7751, v45
	v_fmac_f32_e32 v49, 0x3f3d2fb0, v17
	v_add_f32_e32 v48, v48, v53
	v_mul_f32_e32 v53, 0xbf65296c, v41
	s_delay_alu instid0(VALU_DEP_3) | instskip(SKIP_1) | instid1(VALU_DEP_3)
	v_dual_fmamk_f32 v52, v15, 0x3f3d2fb0, v50 :: v_dual_add_f32 v49, v49, v51
	v_fma_f32 v50, 0x3f3d2fb0, v15, -v50
	v_fma_f32 v51, 0x3ee437d1, v17, -v53
	s_delay_alu instid0(VALU_DEP_3) | instskip(NEXT) | instid1(VALU_DEP_3)
	v_dual_add_f32 v52, v52, v55 :: v_dual_mul_f32 v55, 0xbf65296c, v45
	v_dual_add_f32 v50, v50, v58 :: v_dual_fmac_f32 v53, 0x3ee437d1, v17
	s_delay_alu instid0(VALU_DEP_3) | instskip(NEXT) | instid1(VALU_DEP_3)
	v_dual_add_f32 v51, v51, v57 :: v_dual_add_f32 v84, v84, v86
	v_fmamk_f32 v58, v15, 0x3ee437d1, v55
	v_fma_f32 v55, 0x3ee437d1, v15, -v55
	s_delay_alu instid0(VALU_DEP_4) | instskip(NEXT) | instid1(VALU_DEP_3)
	v_add_f32_e32 v53, v53, v54
	v_add_f32_e32 v57, v58, v77
	v_mul_f32_e32 v58, 0xbe3c28d5, v41
	s_delay_alu instid0(VALU_DEP_4) | instskip(NEXT) | instid1(VALU_DEP_2)
	v_dual_mul_f32 v77, 0xbe3c28d5, v45 :: v_dual_add_f32 v54, v55, v76
	v_fma_f32 v55, 0xbf7ba420, v17, -v58
	s_delay_alu instid0(VALU_DEP_2) | instskip(SKIP_2) | instid1(VALU_DEP_3)
	v_fmamk_f32 v76, v15, 0xbf7ba420, v77
	v_fmac_f32_e32 v58, 0xbf7ba420, v17
	v_fma_f32 v77, 0xbf7ba420, v15, -v77
	v_dual_add_f32 v55, v55, v60 :: v_dual_add_f32 v60, v76, v79
	v_mul_f32_e32 v76, 0x3f7ee86f, v41
	s_delay_alu instid0(VALU_DEP_4) | instskip(NEXT) | instid1(VALU_DEP_4)
	v_dual_add_f32 v56, v58, v56 :: v_dual_mul_f32 v79, 0x3f7ee86f, v45
	v_add_f32_e32 v77, v77, v78
	s_delay_alu instid0(VALU_DEP_3) | instskip(NEXT) | instid1(VALU_DEP_3)
	v_fma_f32 v58, 0x3dbcf732, v17, -v76
	v_fmamk_f32 v78, v15, 0x3dbcf732, v79
	v_fma_f32 v79, 0x3dbcf732, v15, -v79
	s_delay_alu instid0(VALU_DEP_3) | instskip(SKIP_2) | instid1(VALU_DEP_4)
	v_add_f32_e32 v58, v58, v73
	v_mul_f32_e32 v73, 0xbeb8f4ab, v41
	v_mul_f32_e32 v41, 0xbf4c4adb, v41
	v_add_f32_e32 v79, v79, v80
	s_delay_alu instid0(VALU_DEP_3) | instskip(NEXT) | instid1(VALU_DEP_1)
	v_fma_f32 v81, 0x3f6eb680, v17, -v73
	v_dual_fmac_f32 v73, 0x3f6eb680, v17 :: v_dual_add_f32 v74, v81, v74
	s_delay_alu instid0(VALU_DEP_1)
	v_dual_add_f32 v72, v73, v72 :: v_dual_sub_f32 v73, v11, v13
	v_add_f32_e32 v11, v11, v13
	v_fmac_f32_e32 v76, 0x3dbcf732, v17
	v_fma_f32 v81, 0xbf1a4643, v17, -v41
	v_fmac_f32_e32 v41, 0xbf1a4643, v17
	v_sub_f32_e32 v17, v12, v14
	v_add_f32_e32 v12, v12, v14
	v_dual_add_f32 v59, v76, v59 :: v_dual_mul_f32 v76, 0xbeb8f4ab, v45
	v_mul_f32_e32 v45, 0xbf4c4adb, v45
	v_mul_f32_e32 v14, 0xbf4c4adb, v73
	;; [unrolled: 1-line block ×3, first 2 shown]
	s_delay_alu instid0(VALU_DEP_4) | instskip(SKIP_2) | instid1(VALU_DEP_2)
	v_dual_add_f32 v21, v41, v21 :: v_dual_fmamk_f32 v80, v15, 0x3f6eb680, v76
	v_fma_f32 v76, 0x3f6eb680, v15, -v76
	v_dual_mul_f32 v41, 0x3f763a35, v73 :: v_dual_add_f32 v44, v81, v44
	v_add_f32_e32 v22, v76, v22
	v_fmamk_f32 v76, v15, 0xbf1a4643, v45
	v_fma_f32 v15, 0xbf1a4643, v15, -v45
	s_delay_alu instid0(VALU_DEP_2) | instskip(SKIP_1) | instid1(VALU_DEP_3)
	v_add_f32_e32 v45, v76, v75
	v_fma_f32 v75, 0xbf1a4643, v12, -v14
	v_add_f32_e32 v15, v15, v19
	v_fmamk_f32 v19, v11, 0xbf1a4643, v13
	v_fma_f32 v13, 0xbf1a4643, v11, -v13
	v_fmac_f32_e32 v14, 0xbf1a4643, v12
	v_dual_add_f32 v20, v75, v20 :: v_dual_mul_f32 v75, 0x3f763a35, v17
	s_delay_alu instid0(VALU_DEP_4) | instskip(SKIP_4) | instid1(VALU_DEP_4)
	v_add_f32_e32 v19, v19, v38
	v_fma_f32 v38, 0xbe8c1d8e, v12, -v41
	v_dual_add_f32 v13, v13, v40 :: v_dual_mul_f32 v40, 0xbeb8f4ab, v73
	v_add_f32_e32 v14, v14, v42
	v_fmamk_f32 v42, v11, 0xbe8c1d8e, v75
	v_dual_add_f32 v38, v38, v47 :: v_dual_fmac_f32 v41, 0xbe8c1d8e, v12
	v_fma_f32 v47, 0xbe8c1d8e, v11, -v75
	v_fma_f32 v75, 0x3f6eb680, v12, -v40
	v_mul_f32_e32 v76, 0xbeb8f4ab, v17
	s_delay_alu instid0(VALU_DEP_4) | instskip(NEXT) | instid1(VALU_DEP_4)
	v_dual_add_f32 v42, v42, v46 :: v_dual_add_f32 v39, v41, v39
	v_add_f32_e32 v41, v47, v43
	s_delay_alu instid0(VALU_DEP_4)
	v_add_f32_e32 v43, v75, v48
	v_mul_f32_e32 v75, 0xbf06c442, v17
	v_fmac_f32_e32 v40, 0x3f6eb680, v12
	v_fmamk_f32 v46, v11, 0x3f6eb680, v76
	v_mul_f32_e32 v47, 0xbf06c442, v73
	v_fma_f32 v48, 0x3f6eb680, v11, -v76
	s_delay_alu instid0(VALU_DEP_4) | instskip(NEXT) | instid1(VALU_DEP_4)
	v_dual_add_f32 v40, v40, v49 :: v_dual_fmamk_f32 v49, v11, 0xbf59a7d5, v75
	v_add_f32_e32 v46, v46, v52
	s_delay_alu instid0(VALU_DEP_4) | instskip(NEXT) | instid1(VALU_DEP_4)
	v_fma_f32 v52, 0xbf59a7d5, v12, -v47
	v_dual_add_f32 v48, v48, v50 :: v_dual_fmac_f32 v47, 0xbf59a7d5, v12
	s_delay_alu instid0(VALU_DEP_4) | instskip(NEXT) | instid1(VALU_DEP_3)
	v_dual_add_f32 v49, v49, v57 :: v_dual_add_f32 v78, v78, v82
	v_dual_mul_f32 v50, 0x3f7ee86f, v73 :: v_dual_add_f32 v51, v52, v51
	v_fma_f32 v52, 0xbf59a7d5, v11, -v75
	v_mul_f32_e32 v75, 0x3f7ee86f, v17
	v_add_f32_e32 v47, v47, v53
	s_delay_alu instid0(VALU_DEP_4) | instskip(NEXT) | instid1(VALU_DEP_4)
	v_fma_f32 v57, 0x3dbcf732, v12, -v50
	v_dual_mul_f32 v53, 0xbf2c7751, v73 :: v_dual_add_f32 v52, v52, v54
	v_fmac_f32_e32 v50, 0x3dbcf732, v12
	s_delay_alu instid0(VALU_DEP_3) | instskip(SKIP_1) | instid1(VALU_DEP_4)
	v_dual_add_f32 v54, v57, v55 :: v_dual_fmamk_f32 v55, v11, 0x3dbcf732, v75
	v_fma_f32 v57, 0x3dbcf732, v11, -v75
	v_fma_f32 v75, 0x3f3d2fb0, v12, -v53
	s_delay_alu instid0(VALU_DEP_4)
	v_add_f32_e32 v50, v50, v56
	v_fmac_f32_e32 v53, 0x3f3d2fb0, v12
	v_dual_add_f32 v55, v55, v60 :: v_dual_mul_f32 v60, 0xbe3c28d5, v73
	v_mul_f32_e32 v73, 0x3f65296c, v73
	v_dual_add_f32 v56, v57, v77 :: v_dual_add_f32 v57, v75, v58
	v_mul_f32_e32 v75, 0xbe3c28d5, v17
	s_delay_alu instid0(VALU_DEP_4) | instskip(SKIP_2) | instid1(VALU_DEP_3)
	v_fma_f32 v77, 0xbf7ba420, v12, -v60
	v_dual_add_f32 v53, v53, v59 :: v_dual_add_f32 v80, v80, v84
	v_mul_f32_e32 v76, 0xbf2c7751, v17
	v_dual_fmamk_f32 v59, v11, 0xbf7ba420, v75 :: v_dual_add_f32 v74, v77, v74
	v_fma_f32 v77, 0x3ee437d1, v12, -v73
	v_fmac_f32_e32 v60, 0xbf7ba420, v12
	v_fma_f32 v75, 0xbf7ba420, v11, -v75
	v_mul_f32_e32 v17, 0x3f65296c, v17
	v_fmac_f32_e32 v73, 0x3ee437d1, v12
	v_dual_add_f32 v44, v77, v44 :: v_dual_add_f32 v77, v10, v9
	v_dual_sub_f32 v9, v10, v9 :: v_dual_fmamk_f32 v58, v11, 0x3f3d2fb0, v76
	v_add_f32_e32 v22, v75, v22
	v_fmamk_f32 v75, v11, 0x3ee437d1, v17
	v_fma_f32 v10, 0x3ee437d1, v11, -v17
	v_add_f32_e32 v17, v73, v21
	v_dual_mul_f32 v21, 0x3f65296c, v9 :: v_dual_add_f32 v60, v60, v72
	v_sub_f32_e32 v72, v7, v8
	v_add_f32_e32 v58, v58, v78
	v_fma_f32 v76, 0x3f3d2fb0, v11, -v76
	v_mul_f32_e32 v11, 0xbf06c442, v9
	v_add_f32_e32 v7, v7, v8
	v_mul_f32_e32 v78, 0xbf06c442, v72
	v_dual_add_f32 v10, v10, v15 :: v_dual_mul_f32 v73, 0x3f4c4adb, v9
	s_delay_alu instid0(VALU_DEP_3) | instskip(NEXT) | instid1(VALU_DEP_3)
	v_dual_add_f32 v76, v76, v79 :: v_dual_fmamk_f32 v15, v7, 0xbf59a7d5, v11
	v_fma_f32 v8, 0xbf59a7d5, v77, -v78
	v_fma_f32 v11, 0xbf59a7d5, v7, -v11
	v_dual_add_f32 v12, v75, v45 :: v_dual_mul_f32 v45, 0xbf7ee86f, v72
	s_delay_alu instid0(VALU_DEP_3) | instskip(NEXT) | instid1(VALU_DEP_3)
	v_dual_add_f32 v15, v15, v19 :: v_dual_add_f32 v8, v8, v20
	v_dual_mul_f32 v20, 0x3f65296c, v72 :: v_dual_add_f32 v11, v11, v13
	v_fmamk_f32 v13, v7, 0x3ee437d1, v21
	v_fma_f32 v21, 0x3ee437d1, v7, -v21
	v_add_f32_e32 v59, v59, v80
	s_delay_alu instid0(VALU_DEP_4) | instskip(NEXT) | instid1(VALU_DEP_4)
	v_fma_f32 v19, 0x3ee437d1, v77, -v20
	v_dual_fmac_f32 v20, 0x3ee437d1, v77 :: v_dual_add_f32 v13, v13, v42
	v_dual_mul_f32 v42, 0xbf7ee86f, v9 :: v_dual_add_f32 v75, v6, v4
	s_delay_alu instid0(VALU_DEP_3) | instskip(SKIP_1) | instid1(VALU_DEP_4)
	v_add_f32_e32 v19, v19, v38
	v_fma_f32 v38, 0x3dbcf732, v77, -v45
	v_dual_add_f32 v20, v20, v39 :: v_dual_add_f32 v39, v21, v41
	v_fmac_f32_e32 v45, 0x3dbcf732, v77
	s_delay_alu instid0(VALU_DEP_3) | instskip(SKIP_2) | instid1(VALU_DEP_3)
	v_dual_mul_f32 v21, 0x3f4c4adb, v72 :: v_dual_add_f32 v38, v38, v43
	v_fmamk_f32 v41, v7, 0x3dbcf732, v42
	v_fma_f32 v42, 0x3dbcf732, v7, -v42
	v_fma_f32 v43, 0xbf1a4643, v77, -v21
	v_fmac_f32_e32 v21, 0xbf1a4643, v77
	s_delay_alu instid0(VALU_DEP_4) | instskip(NEXT) | instid1(VALU_DEP_3)
	v_dual_add_f32 v41, v41, v46 :: v_dual_mul_f32 v46, 0xbeb8f4ab, v72
	v_dual_add_f32 v42, v42, v48 :: v_dual_add_f32 v43, v43, v51
	v_dual_mul_f32 v51, 0xbeb8f4ab, v9 :: v_dual_add_f32 v40, v45, v40
	v_fmamk_f32 v45, v7, 0xbf1a4643, v73
	v_fma_f32 v48, 0xbf1a4643, v7, -v73
	v_add_f32_e32 v47, v21, v47
	s_delay_alu instid0(VALU_DEP_4)
	v_fmamk_f32 v21, v7, 0x3f6eb680, v51
	v_fma_f32 v51, 0x3f6eb680, v7, -v51
	v_add_f32_e32 v45, v45, v49
	v_fma_f32 v49, 0x3f6eb680, v77, -v46
	v_fmac_f32_e32 v46, 0x3f6eb680, v77
	v_mul_f32_e32 v73, 0x3f2c7751, v9
	s_delay_alu instid0(VALU_DEP_3)
	v_add_f32_e32 v49, v49, v54
	v_dual_add_f32 v54, v21, v55 :: v_dual_mul_f32 v55, 0xbe3c28d5, v9
	v_add_f32_e32 v48, v48, v52
	v_mul_f32_e32 v52, 0xbe3c28d5, v72
	v_add_f32_e32 v46, v46, v50
	v_dual_add_f32 v50, v51, v56 :: v_dual_mul_f32 v9, 0xbf763a35, v9
	v_mul_f32_e32 v51, 0x3f2c7751, v72
	s_delay_alu instid0(VALU_DEP_4) | instskip(SKIP_1) | instid1(VALU_DEP_2)
	v_fma_f32 v21, 0xbf7ba420, v77, -v52
	v_fmac_f32_e32 v52, 0xbf7ba420, v77
	v_dual_add_f32 v56, v21, v57 :: v_dual_fmamk_f32 v21, v7, 0xbf7ba420, v55
	v_fma_f32 v55, 0xbf7ba420, v7, -v55
	v_fmac_f32_e32 v78, 0xbf59a7d5, v77
	s_delay_alu instid0(VALU_DEP_4) | instskip(SKIP_2) | instid1(VALU_DEP_4)
	v_add_f32_e32 v52, v52, v53
	v_fma_f32 v57, 0x3f3d2fb0, v77, -v51
	v_dual_add_f32 v58, v21, v58 :: v_dual_fmac_f32 v51, 0x3f3d2fb0, v77
	v_dual_add_f32 v53, v55, v76 :: v_dual_add_f32 v14, v78, v14
	s_delay_alu instid0(VALU_DEP_3)
	v_add_f32_e32 v55, v57, v74
	v_mul_f32_e32 v57, 0xbf763a35, v72
	v_fma_f32 v72, 0x3f3d2fb0, v7, -v73
	v_fmamk_f32 v21, v7, 0x3f3d2fb0, v73
	v_add_f32_e32 v51, v51, v60
	v_sub_f32_e32 v76, v6, v4
	v_fma_f32 v4, 0xbe8c1d8e, v7, -v9
	v_add_f32_e32 v60, v72, v22
	v_sub_f32_e32 v72, v5, v3
	v_add_f32_e32 v59, v21, v59
	v_fma_f32 v21, 0xbe8c1d8e, v77, -v57
	v_fmac_f32_e32 v57, 0xbe8c1d8e, v77
	s_delay_alu instid0(VALU_DEP_4) | instskip(SKIP_1) | instid1(VALU_DEP_4)
	v_dual_add_f32 v77, v5, v3 :: v_dual_mul_f32 v6, 0xbe3c28d5, v72
	v_mul_f32_e32 v5, 0xbe3c28d5, v76
	v_add_f32_e32 v74, v21, v44
	s_delay_alu instid0(VALU_DEP_4) | instskip(SKIP_4) | instid1(VALU_DEP_2)
	v_add_f32_e32 v17, v57, v17
	v_add_f32_e32 v57, v4, v10
	v_fma_f32 v3, 0xbf7ba420, v75, -v6
	v_fmamk_f32 v4, v77, 0xbf7ba420, v5
	v_fmamk_f32 v73, v7, 0xbe8c1d8e, v9
	v_dual_add_f32 v3, v3, v8 :: v_dual_add_f32 v4, v4, v15
	v_fma_f32 v5, 0xbf7ba420, v77, -v5
	v_mul_f32_e32 v7, 0x3eb8f4ab, v72
	v_mul_f32_e32 v15, 0x3f2c7751, v72
	v_add_f32_e32 v73, v73, v12
	s_delay_alu instid0(VALU_DEP_4) | instskip(NEXT) | instid1(VALU_DEP_4)
	v_add_f32_e32 v22, v5, v11
	v_fma_f32 v8, 0x3f6eb680, v75, -v7
	s_delay_alu instid0(VALU_DEP_1) | instskip(SKIP_4) | instid1(VALU_DEP_3)
	v_add_f32_e32 v5, v8, v19
	v_fma_f32 v19, 0x3f3d2fb0, v75, -v15
	v_mul_f32_e32 v10, 0xbf06c442, v76
	v_mul_f32_e32 v9, 0x3eb8f4ab, v76
	;; [unrolled: 1-line block ×3, first 2 shown]
	v_fmamk_f32 v12, v77, 0xbf59a7d5, v10
	v_fmac_f32_e32 v7, 0x3f6eb680, v75
	s_delay_alu instid0(VALU_DEP_1) | instskip(NEXT) | instid1(VALU_DEP_1)
	v_dual_fmac_f32 v6, 0xbf7ba420, v75 :: v_dual_add_f32 v7, v7, v20
	v_dual_add_f32 v21, v6, v14 :: v_dual_fmamk_f32 v6, v77, 0x3f6eb680, v9
	s_delay_alu instid0(VALU_DEP_1) | instskip(SKIP_3) | instid1(VALU_DEP_3)
	v_add_f32_e32 v6, v6, v13
	v_fma_f32 v8, 0x3f6eb680, v77, -v9
	v_mul_f32_e32 v11, 0xbf06c442, v72
	v_fma_f32 v13, 0xbf59a7d5, v77, -v10
	v_add_f32_e32 v8, v8, v39
	s_delay_alu instid0(VALU_DEP_3) | instskip(SKIP_1) | instid1(VALU_DEP_4)
	v_fma_f32 v9, 0xbf59a7d5, v75, -v11
	v_dual_fmac_f32 v11, 0xbf59a7d5, v75 :: v_dual_add_f32 v10, v12, v41
	v_dual_add_f32 v12, v13, v42 :: v_dual_fmac_f32 v15, 0x3f3d2fb0, v75
	v_dual_mul_f32 v14, 0x3f2c7751, v76 :: v_dual_add_f32 v13, v19, v43
	s_delay_alu instid0(VALU_DEP_4) | instskip(NEXT) | instid1(VALU_DEP_3)
	v_add_f32_e32 v9, v9, v38
	v_add_f32_e32 v19, v15, v47
	s_delay_alu instid0(VALU_DEP_3) | instskip(SKIP_2) | instid1(VALU_DEP_3)
	v_dual_add_f32 v11, v11, v40 :: v_dual_fmamk_f32 v20, v77, 0x3f3d2fb0, v14
	v_mul_f32_e32 v40, 0xbf4c4adb, v72
	v_fma_f32 v38, 0x3f3d2fb0, v77, -v14
	v_add_f32_e32 v14, v20, v45
	s_delay_alu instid0(VALU_DEP_3) | instskip(SKIP_1) | instid1(VALU_DEP_4)
	v_fma_f32 v39, 0xbf1a4643, v75, -v40
	v_mul_f32_e32 v41, 0xbf4c4adb, v76
	v_add_f32_e32 v20, v38, v48
	s_delay_alu instid0(VALU_DEP_2) | instskip(SKIP_1) | instid1(VALU_DEP_2)
	v_dual_add_f32 v38, v39, v49 :: v_dual_fmamk_f32 v39, v77, 0xbf1a4643, v41
	v_fma_f32 v41, 0xbf1a4643, v77, -v41
	v_dual_add_f32 v39, v39, v54 :: v_dual_fmac_f32 v40, 0xbf1a4643, v75
	s_delay_alu instid0(VALU_DEP_2) | instskip(SKIP_2) | instid1(VALU_DEP_4)
	v_add_f32_e32 v41, v41, v50
	v_mul_f32_e32 v15, 0x3f65296c, v72
	v_mul_f32_e32 v50, 0x3f7ee86f, v76
	v_add_f32_e32 v40, v40, v46
	s_delay_alu instid0(VALU_DEP_3) | instskip(SKIP_1) | instid1(VALU_DEP_2)
	v_fma_f32 v42, 0x3ee437d1, v75, -v15
	v_fmamk_f32 v43, v77, 0x3ee437d1, v44
	v_dual_fmac_f32 v15, 0x3ee437d1, v75 :: v_dual_add_f32 v42, v42, v56
	s_delay_alu instid0(VALU_DEP_2) | instskip(SKIP_2) | instid1(VALU_DEP_4)
	v_add_f32_e32 v43, v43, v58
	v_fma_f32 v45, 0x3ee437d1, v77, -v44
	v_mul_f32_e32 v48, 0xbf763a35, v72
	v_add_f32_e32 v44, v15, v52
	s_delay_alu instid0(VALU_DEP_3) | instskip(SKIP_1) | instid1(VALU_DEP_4)
	v_dual_mul_f32 v52, 0x3f7ee86f, v72 :: v_dual_add_f32 v45, v45, v53
	v_fmamk_f32 v53, v77, 0x3dbcf732, v50
	v_fma_f32 v46, 0xbe8c1d8e, v75, -v48
	v_mul_f32_e32 v49, 0xbf763a35, v76
	v_fmac_f32_e32 v48, 0xbe8c1d8e, v75
	s_delay_alu instid0(VALU_DEP_2) | instskip(SKIP_1) | instid1(VALU_DEP_3)
	v_dual_add_f32 v46, v46, v55 :: v_dual_fmamk_f32 v47, v77, 0xbe8c1d8e, v49
	v_fma_f32 v15, 0xbe8c1d8e, v77, -v49
	v_add_f32_e32 v48, v48, v51
	v_cndmask_b32_e64 v51, 0, 0x908, s1
	s_delay_alu instid0(VALU_DEP_4) | instskip(NEXT) | instid1(VALU_DEP_4)
	v_add_f32_e32 v47, v47, v59
	v_add_f32_e32 v49, v15, v60
	v_fma_f32 v15, 0x3dbcf732, v75, -v52
	s_delay_alu instid0(VALU_DEP_4) | instskip(SKIP_2) | instid1(VALU_DEP_4)
	v_dual_add_f32 v51, v53, v73 :: v_dual_add_nc_u32 v54, 0, v51
	v_fma_f32 v55, 0x3dbcf732, v77, -v50
	v_fmac_f32_e32 v52, 0x3dbcf732, v75
	v_add_f32_e32 v50, v15, v74
	s_delay_alu instid0(VALU_DEP_4) | instskip(NEXT) | instid1(VALU_DEP_4)
	v_add3_u32 v2, v54, v2, v34
	v_add_f32_e32 v53, v55, v57
	s_delay_alu instid0(VALU_DEP_4)
	v_add_f32_e32 v52, v52, v17
	ds_store_2addr_b64 v2, v[0:1], v[3:4] offset1:17
	ds_store_2addr_b64 v2, v[5:6], v[9:10] offset0:34 offset1:51
	ds_store_2addr_b64 v2, v[13:14], v[38:39] offset0:68 offset1:85
	;; [unrolled: 1-line block ×7, first 2 shown]
	ds_store_b64 v2, v[21:22] offset:2176
	s_waitcnt lgkmcnt(0)
	s_barrier
	buffer_gl0_inv
	ds_load_2addr_b64 v[0:3], v36 offset0:33 offset1:67
	ds_load_2addr_b64 v[4:7], v36 offset0:101 offset1:135
	ds_load_b64 v[51:52], v61
	ds_load_b64 v[47:48], v71
	;; [unrolled: 1-line block ×4, first 2 shown]
	ds_load_2addr_b64 v[8:11], v36 offset0:169 offset1:203
	ds_load_2addr_b64 v[12:15], v25 offset0:109 offset1:143
	ds_load_b64 v[59:60], v68
	ds_load_b64 v[55:56], v67
	;; [unrolled: 1-line block ×4, first 2 shown]
                                        ; implicit-def: $vgpr44
	s_and_saveexec_b32 s1, s0
	s_cbranch_execz .LBB0_14
; %bb.13:
	ds_load_b64 v[21:22], v23
	ds_load_b64 v[43:44], v64 offset:4488
	v_mov_b32_e32 v16, v28
.LBB0_14:
	s_or_b32 exec_lo, exec_lo, s1
	v_mov_b32_e32 v25, v18
	v_mov_b32_e32 v36, v18
	;; [unrolled: 1-line block ×4, first 2 shown]
	s_delay_alu instid0(VALU_DEP_4) | instskip(NEXT) | instid1(VALU_DEP_4)
	v_lshlrev_b64 v[19:20], 3, v[24:25]
	v_lshlrev_b64 v[41:42], 3, v[35:36]
	s_delay_alu instid0(VALU_DEP_4) | instskip(NEXT) | instid1(VALU_DEP_4)
	v_lshlrev_b64 v[39:40], 3, v[37:38]
	v_lshlrev_b64 v[37:38], 3, v[33:34]
	v_mov_b32_e32 v33, v18
	v_add_co_u32 v72, s1, s4, v19
	s_delay_alu instid0(VALU_DEP_1) | instskip(SKIP_1) | instid1(VALU_DEP_1)
	v_add_co_ci_u32_e64 v73, s1, s5, v20, s1
	v_add_co_u32 v74, s1, s4, v41
	v_add_co_ci_u32_e64 v75, s1, s5, v42, s1
	v_add_co_u32 v76, s1, s4, v39
	v_lshlrev_b64 v[35:36], 3, v[32:33]
	v_add_co_ci_u32_e64 v77, s1, s5, v40, s1
	v_add_co_u32 v78, s1, s4, v37
	s_delay_alu instid0(VALU_DEP_1) | instskip(NEXT) | instid1(VALU_DEP_4)
	v_add_co_ci_u32_e64 v79, s1, s5, v38, s1
	v_add_co_u32 v80, s1, s4, v35
	s_delay_alu instid0(VALU_DEP_1)
	v_add_co_ci_u32_e64 v81, s1, s5, v36, s1
	s_clause 0x4
	global_load_b64 v[72:73], v[72:73], off offset:2176
	global_load_b64 v[74:75], v[74:75], off offset:2176
	;; [unrolled: 1-line block ×5, first 2 shown]
	s_waitcnt vmcnt(4) lgkmcnt(11)
	v_dual_mov_b32 v32, v18 :: v_dual_mul_f32 v25, v73, v1
	v_mul_f32_e32 v73, v73, v0
	s_waitcnt vmcnt(2) lgkmcnt(10)
	v_mul_f32_e32 v87, v77, v5
	s_delay_alu instid0(VALU_DEP_3)
	v_lshlrev_b64 v[33:34], 3, v[31:32]
	v_mov_b32_e32 v31, v18
	v_dual_mul_f32 v77, v77, v4 :: v_dual_mul_f32 v86, v75, v3
	s_waitcnt vmcnt(1)
	v_mul_f32_e32 v88, v79, v7
	v_mul_f32_e32 v75, v75, v2
	v_lshlrev_b64 v[31:32], 3, v[30:31]
	v_mov_b32_e32 v30, v18
	v_add_co_u32 v17, s1, s4, v33
	s_delay_alu instid0(VALU_DEP_1) | instskip(NEXT) | instid1(VALU_DEP_3)
	v_add_co_ci_u32_e64 v18, s1, s5, v34, s1
	v_lshlrev_b64 v[29:30], 3, v[29:30]
	v_add_co_u32 v82, s1, s4, v31
	s_delay_alu instid0(VALU_DEP_1) | instskip(SKIP_1) | instid1(VALU_DEP_4)
	v_add_co_ci_u32_e64 v83, s1, s5, v32, s1
	v_fma_f32 v0, v72, v0, -v25
	v_add_co_u32 v84, s1, s4, v29
	s_delay_alu instid0(VALU_DEP_1)
	v_add_co_ci_u32_e64 v85, s1, s5, v30, s1
	s_clause 0x2
	global_load_b64 v[17:18], v[17:18], off offset:2176
	global_load_b64 v[82:83], v[82:83], off offset:2176
	;; [unrolled: 1-line block ×3, first 2 shown]
	s_waitcnt vmcnt(3) lgkmcnt(5)
	v_mul_f32_e32 v89, v81, v9
	v_mul_f32_e32 v79, v79, v6
	v_fma_f32 v2, v74, v2, -v86
	v_mul_f32_e32 v81, v81, v8
	v_fma_f32 v4, v76, v4, -v87
	v_fmac_f32_e32 v73, v72, v1
	v_fma_f32 v6, v78, v6, -v88
	v_sub_f32_e32 v2, v47, v2
	s_waitcnt vmcnt(0) lgkmcnt(0)
	s_delay_alu instid0(VALU_DEP_3) | instskip(SKIP_1) | instid1(VALU_DEP_2)
	v_dual_sub_f32 v4, v45, v4 :: v_dual_sub_f32 v1, v52, v73
	s_barrier
	v_fma_f32 v47, v47, 2.0, -v2
	buffer_gl0_inv
	v_fma_f32 v45, v45, 2.0, -v4
	v_sub_f32_e32 v6, v49, v6
	v_sub_f32_e32 v0, v51, v0
	s_delay_alu instid0(VALU_DEP_2)
	v_fma_f32 v49, v49, 2.0, -v6
	v_mul_f32_e32 v90, v18, v11
	v_dual_mul_f32 v18, v18, v10 :: v_dual_mul_f32 v91, v83, v13
	v_mul_f32_e32 v83, v83, v12
	v_mul_f32_e32 v92, v15, v85
	v_mul_f32_e32 v85, v14, v85
	v_fma_f32 v8, v80, v8, -v89
	v_fmac_f32_e32 v75, v74, v3
	v_fma_f32 v10, v17, v10, -v90
	v_dual_fmac_f32 v77, v76, v5 :: v_dual_fmac_f32 v18, v17, v11
	v_fma_f32 v12, v82, v12, -v91
	v_fmac_f32_e32 v79, v78, v7
	v_fmac_f32_e32 v83, v82, v13
	v_fma_f32 v14, v14, v84, -v92
	v_fmac_f32_e32 v81, v80, v9
	v_fmac_f32_e32 v85, v15, v84
	v_dual_sub_f32 v8, v59, v8 :: v_dual_sub_f32 v3, v48, v75
	s_delay_alu instid0(VALU_DEP_4)
	v_sub_f32_e32 v14, v57, v14
	v_dual_sub_f32 v10, v55, v10 :: v_dual_sub_f32 v5, v46, v77
	v_sub_f32_e32 v9, v60, v81
	v_dual_sub_f32 v11, v56, v18 :: v_dual_sub_f32 v12, v53, v12
	v_sub_f32_e32 v7, v50, v79
	v_sub_f32_e32 v13, v54, v83
	;; [unrolled: 1-line block ×3, first 2 shown]
	v_fma_f32 v17, v51, 2.0, -v0
	v_fma_f32 v18, v52, 2.0, -v1
	;; [unrolled: 1-line block ×13, first 2 shown]
	ds_store_b64 v64, v[17:18]
	ds_store_b64 v64, v[0:1] offset:2312
	ds_store_b64 v71, v[47:48]
	ds_store_b64 v71, v[2:3] offset:2312
	;; [unrolled: 2-line block ×8, first 2 shown]
	s_and_saveexec_b32 s2, s0
	s_cbranch_execz .LBB0_16
; %bb.15:
	v_mov_b32_e32 v17, 0
	s_delay_alu instid0(VALU_DEP_1) | instskip(NEXT) | instid1(VALU_DEP_1)
	v_lshlrev_b64 v[0:1], 3, v[16:17]
	v_add_co_u32 v0, s1, s4, v0
	s_delay_alu instid0(VALU_DEP_1) | instskip(SKIP_4) | instid1(VALU_DEP_2)
	v_add_co_ci_u32_e64 v1, s1, s5, v1, s1
	global_load_b64 v[0:1], v[0:1], off offset:2176
	s_waitcnt vmcnt(0)
	v_mul_f32_e32 v2, v43, v1
	v_mul_f32_e32 v1, v44, v1
	v_fmac_f32_e32 v2, v44, v0
	s_delay_alu instid0(VALU_DEP_2) | instskip(NEXT) | instid1(VALU_DEP_1)
	v_fma_f32 v0, v43, v0, -v1
	v_dual_sub_f32 v1, v22, v2 :: v_dual_sub_f32 v0, v21, v0
	s_delay_alu instid0(VALU_DEP_1) | instskip(NEXT) | instid1(VALU_DEP_2)
	v_fma_f32 v3, v22, 2.0, -v1
	v_fma_f32 v2, v21, 2.0, -v0
	ds_store_b64 v64, v[2:3] offset:2176
	ds_store_b64 v64, v[0:1] offset:4488
.LBB0_16:
	s_or_b32 exec_lo, exec_lo, s2
	s_waitcnt lgkmcnt(0)
	s_barrier
	buffer_gl0_inv
	ds_load_b64 v[2:3], v61
	v_sub_nc_u32_e32 v4, v63, v62
	s_add_u32 s2, s4, 0x1188
	s_addc_u32 s3, s5, 0
	s_mov_b32 s4, exec_lo
                                        ; implicit-def: $vgpr1
                                        ; implicit-def: $vgpr5
	v_cmpx_ne_u32_e32 0, v24
	s_xor_b32 s4, exec_lo, s4
	s_cbranch_execz .LBB0_18
; %bb.17:
	v_add_co_u32 v0, s1, s2, v19
	s_delay_alu instid0(VALU_DEP_1)
	v_add_co_ci_u32_e64 v1, s1, s3, v20, s1
                                        ; implicit-def: $vgpr63
	global_load_b64 v[6:7], v[0:1], off
	ds_load_b64 v[0:1], v4 offset:4624
	s_waitcnt lgkmcnt(0)
	v_dual_sub_f32 v5, v2, v0 :: v_dual_add_f32 v8, v1, v3
	v_dual_sub_f32 v1, v3, v1 :: v_dual_add_f32 v0, v0, v2
	s_delay_alu instid0(VALU_DEP_2) | instskip(NEXT) | instid1(VALU_DEP_2)
	v_dual_mul_f32 v3, 0.5, v5 :: v_dual_mul_f32 v2, 0.5, v8
	v_mul_f32_e32 v1, 0.5, v1
	s_waitcnt vmcnt(0)
	s_delay_alu instid0(VALU_DEP_2) | instskip(NEXT) | instid1(VALU_DEP_2)
	v_mul_f32_e32 v5, v7, v3
	v_fma_f32 v8, v2, v7, v1
	v_fma_f32 v1, v2, v7, -v1
	s_delay_alu instid0(VALU_DEP_3) | instskip(SKIP_1) | instid1(VALU_DEP_4)
	v_fma_f32 v9, 0.5, v0, v5
	v_fma_f32 v0, v0, 0.5, -v5
	v_fma_f32 v5, -v6, v3, v8
	s_delay_alu instid0(VALU_DEP_4) | instskip(NEXT) | instid1(VALU_DEP_4)
	v_fma_f32 v1, -v6, v3, v1
	v_fmac_f32_e32 v9, v6, v2
	s_delay_alu instid0(VALU_DEP_4)
	v_fma_f32 v0, -v6, v2, v0
                                        ; implicit-def: $vgpr2_vgpr3
	ds_store_b32 v61, v9
.LBB0_18:
	s_and_not1_saveexec_b32 s1, s4
	s_cbranch_execz .LBB0_20
; %bb.19:
	ds_load_b32 v1, v63 offset:2316
	s_waitcnt lgkmcnt(1)
	v_dual_mov_b32 v5, 0 :: v_dual_add_f32 v6, v2, v3
	v_sub_f32_e32 v0, v2, v3
	s_waitcnt lgkmcnt(0)
	v_xor_b32_e32 v2, 0x80000000, v1
	s_delay_alu instid0(VALU_DEP_3)
	v_mov_b32_e32 v1, v5
	ds_store_b32 v61, v6
	ds_store_b32 v63, v2 offset:2316
.LBB0_20:
	s_or_b32 exec_lo, exec_lo, s1
	s_waitcnt lgkmcnt(0)
	v_add_co_u32 v2, s1, s2, v41
	s_delay_alu instid0(VALU_DEP_1) | instskip(SKIP_1) | instid1(VALU_DEP_1)
	v_add_co_ci_u32_e64 v3, s1, s3, v42, s1
	v_add_co_u32 v6, s1, s2, v39
	v_add_co_ci_u32_e64 v7, s1, s3, v40, s1
	global_load_b64 v[2:3], v[2:3], off
	v_add_co_u32 v8, s1, s2, v37
	global_load_b64 v[6:7], v[6:7], off
	v_add_co_ci_u32_e64 v9, s1, s3, v38, s1
	v_add_co_u32 v10, s1, s2, v35
	s_delay_alu instid0(VALU_DEP_1)
	v_add_co_ci_u32_e64 v11, s1, s3, v36, s1
	global_load_b64 v[8:9], v[8:9], off
	v_add_co_u32 v12, s1, s2, v33
	global_load_b64 v[10:11], v[10:11], off
	v_add_co_ci_u32_e64 v13, s1, s3, v34, s1
	v_add_co_u32 v14, s1, s2, v31
	s_delay_alu instid0(VALU_DEP_1)
	v_add_co_ci_u32_e64 v15, s1, s3, v32, s1
	global_load_b64 v[12:13], v[12:13], off
	v_add_co_u32 v16, s1, s2, v29
	global_load_b64 v[14:15], v[14:15], off
	v_add_co_ci_u32_e64 v17, s1, s3, v30, s1
	ds_store_b32 v61, v5 offset:4
	ds_store_b64 v4, v[0:1] offset:4624
	global_load_b64 v[0:1], v[16:17], off
	ds_load_b64 v[16:17], v71
	ds_load_b64 v[21:22], v4 offset:4352
	s_waitcnt lgkmcnt(0)
	v_dual_sub_f32 v5, v16, v21 :: v_dual_add_f32 v18, v17, v22
	v_add_f32_e32 v21, v16, v21
	s_delay_alu instid0(VALU_DEP_2) | instskip(SKIP_1) | instid1(VALU_DEP_1)
	v_dual_mul_f32 v5, 0.5, v5 :: v_dual_mul_f32 v18, 0.5, v18
	s_waitcnt vmcnt(6)
	v_dual_sub_f32 v17, v17, v22 :: v_dual_mul_f32 v22, v3, v5
	s_delay_alu instid0(VALU_DEP_1) | instskip(NEXT) | instid1(VALU_DEP_2)
	v_fma_f32 v16, 0.5, v21, v22
	v_mul_f32_e32 v17, 0.5, v17
	v_fma_f32 v21, v21, 0.5, -v22
	s_delay_alu instid0(VALU_DEP_3) | instskip(NEXT) | instid1(VALU_DEP_3)
	v_fmac_f32_e32 v16, v2, v18
	v_fma_f32 v25, v18, v3, v17
	v_fma_f32 v3, v18, v3, -v17
	s_delay_alu instid0(VALU_DEP_2) | instskip(NEXT) | instid1(VALU_DEP_2)
	v_fma_f32 v17, -v2, v5, v25
	v_fma_f32 v3, -v2, v5, v3
	;; [unrolled: 1-line block ×3, first 2 shown]
	ds_store_b64 v71, v[16:17]
	ds_store_b64 v4, v[2:3] offset:4352
	ds_load_b64 v[2:3], v70
	ds_load_b64 v[16:17], v4 offset:4080
	s_waitcnt lgkmcnt(0)
	v_dual_sub_f32 v5, v2, v16 :: v_dual_add_f32 v18, v3, v17
	v_dual_sub_f32 v3, v3, v17 :: v_dual_add_f32 v16, v2, v16
	s_delay_alu instid0(VALU_DEP_2) | instskip(SKIP_1) | instid1(VALU_DEP_1)
	v_mul_f32_e32 v5, 0.5, v5
	s_waitcnt vmcnt(5)
	v_dual_mul_f32 v17, 0.5, v18 :: v_dual_mul_f32 v18, v7, v5
	s_delay_alu instid0(VALU_DEP_1) | instskip(SKIP_2) | instid1(VALU_DEP_3)
	v_fma_f32 v2, 0.5, v16, v18
	v_mul_f32_e32 v3, 0.5, v3
	v_fma_f32 v16, v16, 0.5, -v18
	v_fmac_f32_e32 v2, v6, v17
	s_delay_alu instid0(VALU_DEP_3) | instskip(SKIP_1) | instid1(VALU_DEP_2)
	v_fma_f32 v21, v17, v7, v3
	v_fma_f32 v7, v17, v7, -v3
	v_fma_f32 v3, -v6, v5, v21
	s_delay_alu instid0(VALU_DEP_2)
	v_fma_f32 v7, -v6, v5, v7
	v_fma_f32 v6, -v6, v17, v16
	ds_store_b64 v70, v[2:3]
	ds_store_b64 v4, v[6:7] offset:4080
	ds_load_b64 v[2:3], v69
	ds_load_b64 v[5:6], v4 offset:3808
	s_waitcnt lgkmcnt(0)
	v_dual_sub_f32 v7, v2, v5 :: v_dual_add_f32 v16, v3, v6
	v_sub_f32_e32 v3, v3, v6
	s_delay_alu instid0(VALU_DEP_2) | instskip(SKIP_1) | instid1(VALU_DEP_1)
	v_dual_add_f32 v5, v2, v5 :: v_dual_mul_f32 v6, 0.5, v7
	s_waitcnt vmcnt(4)
	v_dual_mul_f32 v7, 0.5, v16 :: v_dual_mul_f32 v16, v9, v6
	s_delay_alu instid0(VALU_DEP_1) | instskip(SKIP_1) | instid1(VALU_DEP_2)
	v_fma_f32 v2, 0.5, v5, v16
	v_fma_f32 v5, v5, 0.5, -v16
	v_fmac_f32_e32 v2, v8, v7
	v_mul_f32_e32 v3, 0.5, v3
	s_delay_alu instid0(VALU_DEP_3) | instskip(NEXT) | instid1(VALU_DEP_2)
	v_fma_f32 v5, -v8, v7, v5
	v_fma_f32 v17, v7, v9, v3
	v_fma_f32 v9, v7, v9, -v3
	s_delay_alu instid0(VALU_DEP_2) | instskip(NEXT) | instid1(VALU_DEP_2)
	v_fma_f32 v3, -v8, v6, v17
	v_fma_f32 v6, -v8, v6, v9
	ds_store_b64 v69, v[2:3]
	ds_store_b64 v4, v[5:6] offset:3808
	ds_load_b64 v[2:3], v68
	ds_load_b64 v[5:6], v4 offset:3536
	s_waitcnt lgkmcnt(0)
	v_dual_sub_f32 v7, v2, v5 :: v_dual_add_f32 v8, v3, v6
	v_sub_f32_e32 v3, v3, v6
	s_delay_alu instid0(VALU_DEP_2) | instskip(SKIP_1) | instid1(VALU_DEP_1)
	v_dual_add_f32 v5, v2, v5 :: v_dual_mul_f32 v6, 0.5, v7
	s_waitcnt vmcnt(3)
	v_dual_mul_f32 v7, 0.5, v8 :: v_dual_mul_f32 v8, v11, v6
	s_delay_alu instid0(VALU_DEP_1) | instskip(SKIP_1) | instid1(VALU_DEP_2)
	v_fma_f32 v2, 0.5, v5, v8
	v_fma_f32 v5, v5, 0.5, -v8
	v_fmac_f32_e32 v2, v10, v7
	v_mul_f32_e32 v3, 0.5, v3
	s_delay_alu instid0(VALU_DEP_3) | instskip(NEXT) | instid1(VALU_DEP_2)
	v_fma_f32 v5, -v10, v7, v5
	v_fma_f32 v9, v7, v11, v3
	v_fma_f32 v11, v7, v11, -v3
	s_delay_alu instid0(VALU_DEP_2) | instskip(NEXT) | instid1(VALU_DEP_2)
	;; [unrolled: 23-line block ×4, first 2 shown]
	v_fma_f32 v3, -v14, v6, v9
	v_fma_f32 v6, -v14, v6, v10
	ds_store_b64 v66, v[2:3]
	ds_store_b64 v4, v[5:6] offset:2992
	ds_load_b64 v[2:3], v65
	ds_load_b64 v[5:6], v4 offset:2720
	s_waitcnt lgkmcnt(0)
	v_dual_sub_f32 v7, v2, v5 :: v_dual_add_f32 v8, v3, v6
	v_dual_sub_f32 v3, v3, v6 :: v_dual_add_f32 v2, v2, v5
	s_delay_alu instid0(VALU_DEP_2) | instskip(NEXT) | instid1(VALU_DEP_2)
	v_dual_mul_f32 v6, 0.5, v7 :: v_dual_mul_f32 v7, 0.5, v8
	v_mul_f32_e32 v3, 0.5, v3
	s_waitcnt vmcnt(0)
	s_delay_alu instid0(VALU_DEP_2) | instskip(NEXT) | instid1(VALU_DEP_2)
	v_mul_f32_e32 v5, v1, v6
	v_fma_f32 v8, v7, v1, v3
	v_fma_f32 v3, v7, v1, -v3
	s_delay_alu instid0(VALU_DEP_3) | instskip(SKIP_1) | instid1(VALU_DEP_4)
	v_fma_f32 v1, 0.5, v2, v5
	v_fma_f32 v5, v2, 0.5, -v5
	v_fma_f32 v2, -v0, v6, v8
	s_delay_alu instid0(VALU_DEP_4) | instskip(NEXT) | instid1(VALU_DEP_4)
	v_fma_f32 v6, -v0, v6, v3
	v_fmac_f32_e32 v1, v0, v7
	s_delay_alu instid0(VALU_DEP_4)
	v_fma_f32 v5, -v0, v7, v5
	ds_store_b64 v65, v[1:2]
	ds_store_b64 v4, v[5:6] offset:2720
	s_and_saveexec_b32 s1, s0
	s_cbranch_execz .LBB0_22
; %bb.21:
	v_mov_b32_e32 v29, 0
	s_delay_alu instid0(VALU_DEP_1) | instskip(NEXT) | instid1(VALU_DEP_1)
	v_lshlrev_b64 v[0:1], 3, v[28:29]
	v_add_co_u32 v0, s0, s2, v0
	s_delay_alu instid0(VALU_DEP_1)
	v_add_co_ci_u32_e64 v1, s0, s3, v1, s0
	global_load_b64 v[0:1], v[0:1], off
	ds_load_b64 v[2:3], v23
	ds_load_b64 v[5:6], v4 offset:2448
	s_waitcnt lgkmcnt(0)
	v_dual_add_f32 v8, v3, v6 :: v_dual_sub_f32 v7, v2, v5
	v_dual_sub_f32 v3, v3, v6 :: v_dual_add_f32 v2, v2, v5
	s_delay_alu instid0(VALU_DEP_2) | instskip(NEXT) | instid1(VALU_DEP_2)
	v_dual_mul_f32 v6, 0.5, v7 :: v_dual_mul_f32 v7, 0.5, v8
	v_mul_f32_e32 v3, 0.5, v3
	s_waitcnt vmcnt(0)
	s_delay_alu instid0(VALU_DEP_2) | instskip(NEXT) | instid1(VALU_DEP_2)
	v_mul_f32_e32 v5, v1, v6
	v_fma_f32 v8, v7, v1, v3
	v_fma_f32 v3, v7, v1, -v3
	s_delay_alu instid0(VALU_DEP_3) | instskip(SKIP_1) | instid1(VALU_DEP_4)
	v_fma_f32 v1, 0.5, v2, v5
	v_fma_f32 v5, v2, 0.5, -v5
	v_fma_f32 v2, -v0, v6, v8
	s_delay_alu instid0(VALU_DEP_4) | instskip(NEXT) | instid1(VALU_DEP_4)
	v_fma_f32 v6, -v0, v6, v3
	v_fmac_f32_e32 v1, v0, v7
	s_delay_alu instid0(VALU_DEP_4)
	v_fma_f32 v5, -v0, v7, v5
	ds_store_b64 v23, v[1:2]
	ds_store_b64 v4, v[5:6] offset:2448
.LBB0_22:
	s_or_b32 exec_lo, exec_lo, s1
	s_waitcnt lgkmcnt(0)
	s_barrier
	buffer_gl0_inv
	s_and_saveexec_b32 s0, vcc_lo
	s_cbranch_execz .LBB0_25
; %bb.23:
	v_add_nc_u32_e32 v36, 0x800, v61
	ds_load_2addr_b64 v[2:5], v61 offset1:34
	ds_load_2addr_b64 v[6:9], v61 offset0:68 offset1:102
	ds_load_2addr_b64 v[10:13], v61 offset0:136 offset1:170
	;; [unrolled: 1-line block ×4, first 2 shown]
	v_add_co_u32 v0, vcc_lo, s8, v26
	v_add_co_ci_u32_e32 v1, vcc_lo, s9, v27, vcc_lo
	ds_load_2addr_b64 v[32:35], v36 offset0:84 offset1:118
	v_add_co_u32 v22, vcc_lo, v0, v19
	v_add_co_ci_u32_e32 v23, vcc_lo, v1, v20, vcc_lo
	ds_load_2addr_b64 v[18:21], v36 offset0:152 offset1:186
	ds_load_b64 v[25:26], v61 offset:4352
	ds_load_2addr_b64 v[36:39], v36 offset0:220 offset1:254
	s_waitcnt lgkmcnt(8)
	s_clause 0x1
	global_store_b64 v[22:23], v[2:3], off
	global_store_b64 v[22:23], v[4:5], off offset:272
	s_waitcnt lgkmcnt(7)
	s_clause 0x1
	global_store_b64 v[22:23], v[6:7], off offset:544
	global_store_b64 v[22:23], v[8:9], off offset:816
	s_waitcnt lgkmcnt(6)
	s_clause 0x1
	global_store_b64 v[22:23], v[10:11], off offset:1088
	;; [unrolled: 4-line block ×5, first 2 shown]
	global_store_b64 v[22:23], v[34:35], off offset:2992
	v_add_co_u32 v2, vcc_lo, 0x1000, v22
	v_add_co_ci_u32_e32 v3, vcc_lo, 0, v23, vcc_lo
	v_cmp_eq_u32_e32 vcc_lo, 33, v24
	s_waitcnt lgkmcnt(2)
	s_clause 0x1
	global_store_b64 v[22:23], v[18:19], off offset:3264
	global_store_b64 v[22:23], v[20:21], off offset:3536
	s_waitcnt lgkmcnt(0)
	s_clause 0x2
	global_store_b64 v[22:23], v[36:37], off offset:3808
	global_store_b64 v[22:23], v[38:39], off offset:4080
	;; [unrolled: 1-line block ×3, first 2 shown]
	s_and_b32 exec_lo, exec_lo, vcc_lo
	s_cbranch_execz .LBB0_25
; %bb.24:
	ds_load_b64 v[2:3], v61 offset:4360
	v_add_co_u32 v0, vcc_lo, 0x1000, v0
	v_add_co_ci_u32_e32 v1, vcc_lo, 0, v1, vcc_lo
	s_waitcnt lgkmcnt(0)
	global_store_b64 v[0:1], v[2:3], off offset:528
.LBB0_25:
	s_nop 0
	s_sendmsg sendmsg(MSG_DEALLOC_VGPRS)
	s_endpgm
	.section	.rodata,"a",@progbits
	.p2align	6, 0x0
	.amdhsa_kernel fft_rtc_fwd_len578_factors_17_17_2_wgs_238_tpt_34_halfLds_sp_ip_CI_unitstride_sbrr_R2C_dirReg
		.amdhsa_group_segment_fixed_size 0
		.amdhsa_private_segment_fixed_size 0
		.amdhsa_kernarg_size 88
		.amdhsa_user_sgpr_count 15
		.amdhsa_user_sgpr_dispatch_ptr 0
		.amdhsa_user_sgpr_queue_ptr 0
		.amdhsa_user_sgpr_kernarg_segment_ptr 1
		.amdhsa_user_sgpr_dispatch_id 0
		.amdhsa_user_sgpr_private_segment_size 0
		.amdhsa_wavefront_size32 1
		.amdhsa_uses_dynamic_stack 0
		.amdhsa_enable_private_segment 0
		.amdhsa_system_sgpr_workgroup_id_x 1
		.amdhsa_system_sgpr_workgroup_id_y 0
		.amdhsa_system_sgpr_workgroup_id_z 0
		.amdhsa_system_sgpr_workgroup_info 0
		.amdhsa_system_vgpr_workitem_id 0
		.amdhsa_next_free_vgpr 94
		.amdhsa_next_free_sgpr 21
		.amdhsa_reserve_vcc 1
		.amdhsa_float_round_mode_32 0
		.amdhsa_float_round_mode_16_64 0
		.amdhsa_float_denorm_mode_32 3
		.amdhsa_float_denorm_mode_16_64 3
		.amdhsa_dx10_clamp 1
		.amdhsa_ieee_mode 1
		.amdhsa_fp16_overflow 0
		.amdhsa_workgroup_processor_mode 1
		.amdhsa_memory_ordered 1
		.amdhsa_forward_progress 0
		.amdhsa_shared_vgpr_count 0
		.amdhsa_exception_fp_ieee_invalid_op 0
		.amdhsa_exception_fp_denorm_src 0
		.amdhsa_exception_fp_ieee_div_zero 0
		.amdhsa_exception_fp_ieee_overflow 0
		.amdhsa_exception_fp_ieee_underflow 0
		.amdhsa_exception_fp_ieee_inexact 0
		.amdhsa_exception_int_div_zero 0
	.end_amdhsa_kernel
	.text
.Lfunc_end0:
	.size	fft_rtc_fwd_len578_factors_17_17_2_wgs_238_tpt_34_halfLds_sp_ip_CI_unitstride_sbrr_R2C_dirReg, .Lfunc_end0-fft_rtc_fwd_len578_factors_17_17_2_wgs_238_tpt_34_halfLds_sp_ip_CI_unitstride_sbrr_R2C_dirReg
                                        ; -- End function
	.section	.AMDGPU.csdata,"",@progbits
; Kernel info:
; codeLenInByte = 16924
; NumSgprs: 23
; NumVgprs: 94
; ScratchSize: 0
; MemoryBound: 0
; FloatMode: 240
; IeeeMode: 1
; LDSByteSize: 0 bytes/workgroup (compile time only)
; SGPRBlocks: 2
; VGPRBlocks: 11
; NumSGPRsForWavesPerEU: 23
; NumVGPRsForWavesPerEU: 94
; Occupancy: 16
; WaveLimiterHint : 1
; COMPUTE_PGM_RSRC2:SCRATCH_EN: 0
; COMPUTE_PGM_RSRC2:USER_SGPR: 15
; COMPUTE_PGM_RSRC2:TRAP_HANDLER: 0
; COMPUTE_PGM_RSRC2:TGID_X_EN: 1
; COMPUTE_PGM_RSRC2:TGID_Y_EN: 0
; COMPUTE_PGM_RSRC2:TGID_Z_EN: 0
; COMPUTE_PGM_RSRC2:TIDIG_COMP_CNT: 0
	.text
	.p2alignl 7, 3214868480
	.fill 96, 4, 3214868480
	.type	__hip_cuid_93c3f5a5c2821669,@object ; @__hip_cuid_93c3f5a5c2821669
	.section	.bss,"aw",@nobits
	.globl	__hip_cuid_93c3f5a5c2821669
__hip_cuid_93c3f5a5c2821669:
	.byte	0                               ; 0x0
	.size	__hip_cuid_93c3f5a5c2821669, 1

	.ident	"AMD clang version 19.0.0git (https://github.com/RadeonOpenCompute/llvm-project roc-6.4.0 25133 c7fe45cf4b819c5991fe208aaa96edf142730f1d)"
	.section	".note.GNU-stack","",@progbits
	.addrsig
	.addrsig_sym __hip_cuid_93c3f5a5c2821669
	.amdgpu_metadata
---
amdhsa.kernels:
  - .args:
      - .actual_access:  read_only
        .address_space:  global
        .offset:         0
        .size:           8
        .value_kind:     global_buffer
      - .offset:         8
        .size:           8
        .value_kind:     by_value
      - .actual_access:  read_only
        .address_space:  global
        .offset:         16
        .size:           8
        .value_kind:     global_buffer
      - .actual_access:  read_only
        .address_space:  global
        .offset:         24
        .size:           8
        .value_kind:     global_buffer
      - .offset:         32
        .size:           8
        .value_kind:     by_value
      - .actual_access:  read_only
        .address_space:  global
        .offset:         40
        .size:           8
        .value_kind:     global_buffer
      - .actual_access:  read_only
        .address_space:  global
        .offset:         48
        .size:           8
        .value_kind:     global_buffer
      - .offset:         56
        .size:           4
        .value_kind:     by_value
      - .actual_access:  read_only
        .address_space:  global
        .offset:         64
        .size:           8
        .value_kind:     global_buffer
      - .actual_access:  read_only
        .address_space:  global
        .offset:         72
        .size:           8
        .value_kind:     global_buffer
      - .address_space:  global
        .offset:         80
        .size:           8
        .value_kind:     global_buffer
    .group_segment_fixed_size: 0
    .kernarg_segment_align: 8
    .kernarg_segment_size: 88
    .language:       OpenCL C
    .language_version:
      - 2
      - 0
    .max_flat_workgroup_size: 238
    .name:           fft_rtc_fwd_len578_factors_17_17_2_wgs_238_tpt_34_halfLds_sp_ip_CI_unitstride_sbrr_R2C_dirReg
    .private_segment_fixed_size: 0
    .sgpr_count:     23
    .sgpr_spill_count: 0
    .symbol:         fft_rtc_fwd_len578_factors_17_17_2_wgs_238_tpt_34_halfLds_sp_ip_CI_unitstride_sbrr_R2C_dirReg.kd
    .uniform_work_group_size: 1
    .uses_dynamic_stack: false
    .vgpr_count:     94
    .vgpr_spill_count: 0
    .wavefront_size: 32
    .workgroup_processor_mode: 1
amdhsa.target:   amdgcn-amd-amdhsa--gfx1100
amdhsa.version:
  - 1
  - 2
...

	.end_amdgpu_metadata
